;; amdgpu-corpus repo=ROCm/rocPRIM kind=compiled arch=gfx906 opt=O3
	.amdgcn_target "amdgcn-amd-amdhsa--gfx906"
	.amdhsa_code_object_version 6
	.section	.text._Z17warp_store_kernelILj1024ELj4ELj1ELN7rocprim17ROCPRIM_304000_NS17warp_store_methodE3E12hip_bfloat16EvPT3_S5_,"axG",@progbits,_Z17warp_store_kernelILj1024ELj4ELj1ELN7rocprim17ROCPRIM_304000_NS17warp_store_methodE3E12hip_bfloat16EvPT3_S5_,comdat
	.protected	_Z17warp_store_kernelILj1024ELj4ELj1ELN7rocprim17ROCPRIM_304000_NS17warp_store_methodE3E12hip_bfloat16EvPT3_S5_ ; -- Begin function _Z17warp_store_kernelILj1024ELj4ELj1ELN7rocprim17ROCPRIM_304000_NS17warp_store_methodE3E12hip_bfloat16EvPT3_S5_
	.globl	_Z17warp_store_kernelILj1024ELj4ELj1ELN7rocprim17ROCPRIM_304000_NS17warp_store_methodE3E12hip_bfloat16EvPT3_S5_
	.p2align	8
	.type	_Z17warp_store_kernelILj1024ELj4ELj1ELN7rocprim17ROCPRIM_304000_NS17warp_store_methodE3E12hip_bfloat16EvPT3_S5_,@function
_Z17warp_store_kernelILj1024ELj4ELj1ELN7rocprim17ROCPRIM_304000_NS17warp_store_methodE3E12hip_bfloat16EvPT3_S5_: ; @_Z17warp_store_kernelILj1024ELj4ELj1ELN7rocprim17ROCPRIM_304000_NS17warp_store_methodE3E12hip_bfloat16EvPT3_S5_
; %bb.0:
	s_load_dwordx4 s[0:3], s[4:5], 0x0
	v_lshlrev_b32_e32 v2, 3, v0
	s_waitcnt lgkmcnt(0)
	global_load_dwordx2 v[0:1], v2, s[0:1]
	s_waitcnt vmcnt(0)
	ds_write_b64 v2, v[0:1]
	; wave barrier
	ds_read_b64 v[0:1], v2
	s_waitcnt lgkmcnt(0)
	global_store_dwordx2 v2, v[0:1], s[2:3]
	s_endpgm
	.section	.rodata,"a",@progbits
	.p2align	6, 0x0
	.amdhsa_kernel _Z17warp_store_kernelILj1024ELj4ELj1ELN7rocprim17ROCPRIM_304000_NS17warp_store_methodE3E12hip_bfloat16EvPT3_S5_
		.amdhsa_group_segment_fixed_size 8192
		.amdhsa_private_segment_fixed_size 0
		.amdhsa_kernarg_size 16
		.amdhsa_user_sgpr_count 6
		.amdhsa_user_sgpr_private_segment_buffer 1
		.amdhsa_user_sgpr_dispatch_ptr 0
		.amdhsa_user_sgpr_queue_ptr 0
		.amdhsa_user_sgpr_kernarg_segment_ptr 1
		.amdhsa_user_sgpr_dispatch_id 0
		.amdhsa_user_sgpr_flat_scratch_init 0
		.amdhsa_user_sgpr_private_segment_size 0
		.amdhsa_uses_dynamic_stack 0
		.amdhsa_system_sgpr_private_segment_wavefront_offset 0
		.amdhsa_system_sgpr_workgroup_id_x 1
		.amdhsa_system_sgpr_workgroup_id_y 0
		.amdhsa_system_sgpr_workgroup_id_z 0
		.amdhsa_system_sgpr_workgroup_info 0
		.amdhsa_system_vgpr_workitem_id 0
		.amdhsa_next_free_vgpr 29
		.amdhsa_next_free_sgpr 61
		.amdhsa_reserve_vcc 0
		.amdhsa_reserve_flat_scratch 0
		.amdhsa_float_round_mode_32 0
		.amdhsa_float_round_mode_16_64 0
		.amdhsa_float_denorm_mode_32 3
		.amdhsa_float_denorm_mode_16_64 3
		.amdhsa_dx10_clamp 1
		.amdhsa_ieee_mode 1
		.amdhsa_fp16_overflow 0
		.amdhsa_exception_fp_ieee_invalid_op 0
		.amdhsa_exception_fp_denorm_src 0
		.amdhsa_exception_fp_ieee_div_zero 0
		.amdhsa_exception_fp_ieee_overflow 0
		.amdhsa_exception_fp_ieee_underflow 0
		.amdhsa_exception_fp_ieee_inexact 0
		.amdhsa_exception_int_div_zero 0
	.end_amdhsa_kernel
	.section	.text._Z17warp_store_kernelILj1024ELj4ELj1ELN7rocprim17ROCPRIM_304000_NS17warp_store_methodE3E12hip_bfloat16EvPT3_S5_,"axG",@progbits,_Z17warp_store_kernelILj1024ELj4ELj1ELN7rocprim17ROCPRIM_304000_NS17warp_store_methodE3E12hip_bfloat16EvPT3_S5_,comdat
.Lfunc_end0:
	.size	_Z17warp_store_kernelILj1024ELj4ELj1ELN7rocprim17ROCPRIM_304000_NS17warp_store_methodE3E12hip_bfloat16EvPT3_S5_, .Lfunc_end0-_Z17warp_store_kernelILj1024ELj4ELj1ELN7rocprim17ROCPRIM_304000_NS17warp_store_methodE3E12hip_bfloat16EvPT3_S5_
                                        ; -- End function
	.set _Z17warp_store_kernelILj1024ELj4ELj1ELN7rocprim17ROCPRIM_304000_NS17warp_store_methodE3E12hip_bfloat16EvPT3_S5_.num_vgpr, 3
	.set _Z17warp_store_kernelILj1024ELj4ELj1ELN7rocprim17ROCPRIM_304000_NS17warp_store_methodE3E12hip_bfloat16EvPT3_S5_.num_agpr, 0
	.set _Z17warp_store_kernelILj1024ELj4ELj1ELN7rocprim17ROCPRIM_304000_NS17warp_store_methodE3E12hip_bfloat16EvPT3_S5_.numbered_sgpr, 6
	.set _Z17warp_store_kernelILj1024ELj4ELj1ELN7rocprim17ROCPRIM_304000_NS17warp_store_methodE3E12hip_bfloat16EvPT3_S5_.num_named_barrier, 0
	.set _Z17warp_store_kernelILj1024ELj4ELj1ELN7rocprim17ROCPRIM_304000_NS17warp_store_methodE3E12hip_bfloat16EvPT3_S5_.private_seg_size, 0
	.set _Z17warp_store_kernelILj1024ELj4ELj1ELN7rocprim17ROCPRIM_304000_NS17warp_store_methodE3E12hip_bfloat16EvPT3_S5_.uses_vcc, 0
	.set _Z17warp_store_kernelILj1024ELj4ELj1ELN7rocprim17ROCPRIM_304000_NS17warp_store_methodE3E12hip_bfloat16EvPT3_S5_.uses_flat_scratch, 0
	.set _Z17warp_store_kernelILj1024ELj4ELj1ELN7rocprim17ROCPRIM_304000_NS17warp_store_methodE3E12hip_bfloat16EvPT3_S5_.has_dyn_sized_stack, 0
	.set _Z17warp_store_kernelILj1024ELj4ELj1ELN7rocprim17ROCPRIM_304000_NS17warp_store_methodE3E12hip_bfloat16EvPT3_S5_.has_recursion, 0
	.set _Z17warp_store_kernelILj1024ELj4ELj1ELN7rocprim17ROCPRIM_304000_NS17warp_store_methodE3E12hip_bfloat16EvPT3_S5_.has_indirect_call, 0
	.section	.AMDGPU.csdata,"",@progbits
; Kernel info:
; codeLenInByte = 60
; TotalNumSgprs: 10
; NumVgprs: 3
; ScratchSize: 0
; MemoryBound: 0
; FloatMode: 240
; IeeeMode: 1
; LDSByteSize: 8192 bytes/workgroup (compile time only)
; SGPRBlocks: 8
; VGPRBlocks: 7
; NumSGPRsForWavesPerEU: 65
; NumVGPRsForWavesPerEU: 29
; Occupancy: 8
; WaveLimiterHint : 0
; COMPUTE_PGM_RSRC2:SCRATCH_EN: 0
; COMPUTE_PGM_RSRC2:USER_SGPR: 6
; COMPUTE_PGM_RSRC2:TRAP_HANDLER: 0
; COMPUTE_PGM_RSRC2:TGID_X_EN: 1
; COMPUTE_PGM_RSRC2:TGID_Y_EN: 0
; COMPUTE_PGM_RSRC2:TGID_Z_EN: 0
; COMPUTE_PGM_RSRC2:TIDIG_COMP_CNT: 0
	.section	.text._Z17warp_store_kernelILj1024ELj4ELj1ELN7rocprim17ROCPRIM_304000_NS17warp_store_methodE2E12hip_bfloat16EvPT3_S5_,"axG",@progbits,_Z17warp_store_kernelILj1024ELj4ELj1ELN7rocprim17ROCPRIM_304000_NS17warp_store_methodE2E12hip_bfloat16EvPT3_S5_,comdat
	.protected	_Z17warp_store_kernelILj1024ELj4ELj1ELN7rocprim17ROCPRIM_304000_NS17warp_store_methodE2E12hip_bfloat16EvPT3_S5_ ; -- Begin function _Z17warp_store_kernelILj1024ELj4ELj1ELN7rocprim17ROCPRIM_304000_NS17warp_store_methodE2E12hip_bfloat16EvPT3_S5_
	.globl	_Z17warp_store_kernelILj1024ELj4ELj1ELN7rocprim17ROCPRIM_304000_NS17warp_store_methodE2E12hip_bfloat16EvPT3_S5_
	.p2align	8
	.type	_Z17warp_store_kernelILj1024ELj4ELj1ELN7rocprim17ROCPRIM_304000_NS17warp_store_methodE2E12hip_bfloat16EvPT3_S5_,@function
_Z17warp_store_kernelILj1024ELj4ELj1ELN7rocprim17ROCPRIM_304000_NS17warp_store_methodE2E12hip_bfloat16EvPT3_S5_: ; @_Z17warp_store_kernelILj1024ELj4ELj1ELN7rocprim17ROCPRIM_304000_NS17warp_store_methodE2E12hip_bfloat16EvPT3_S5_
; %bb.0:
	s_load_dwordx4 s[0:3], s[4:5], 0x0
	v_lshlrev_b32_e32 v2, 3, v0
	s_waitcnt lgkmcnt(0)
	global_load_dwordx2 v[0:1], v2, s[0:1]
	s_waitcnt vmcnt(0)
	global_store_dwordx2 v2, v[0:1], s[2:3]
	s_endpgm
	.section	.rodata,"a",@progbits
	.p2align	6, 0x0
	.amdhsa_kernel _Z17warp_store_kernelILj1024ELj4ELj1ELN7rocprim17ROCPRIM_304000_NS17warp_store_methodE2E12hip_bfloat16EvPT3_S5_
		.amdhsa_group_segment_fixed_size 0
		.amdhsa_private_segment_fixed_size 0
		.amdhsa_kernarg_size 16
		.amdhsa_user_sgpr_count 6
		.amdhsa_user_sgpr_private_segment_buffer 1
		.amdhsa_user_sgpr_dispatch_ptr 0
		.amdhsa_user_sgpr_queue_ptr 0
		.amdhsa_user_sgpr_kernarg_segment_ptr 1
		.amdhsa_user_sgpr_dispatch_id 0
		.amdhsa_user_sgpr_flat_scratch_init 0
		.amdhsa_user_sgpr_private_segment_size 0
		.amdhsa_uses_dynamic_stack 0
		.amdhsa_system_sgpr_private_segment_wavefront_offset 0
		.amdhsa_system_sgpr_workgroup_id_x 1
		.amdhsa_system_sgpr_workgroup_id_y 0
		.amdhsa_system_sgpr_workgroup_id_z 0
		.amdhsa_system_sgpr_workgroup_info 0
		.amdhsa_system_vgpr_workitem_id 0
		.amdhsa_next_free_vgpr 3
		.amdhsa_next_free_sgpr 6
		.amdhsa_reserve_vcc 0
		.amdhsa_reserve_flat_scratch 0
		.amdhsa_float_round_mode_32 0
		.amdhsa_float_round_mode_16_64 0
		.amdhsa_float_denorm_mode_32 3
		.amdhsa_float_denorm_mode_16_64 3
		.amdhsa_dx10_clamp 1
		.amdhsa_ieee_mode 1
		.amdhsa_fp16_overflow 0
		.amdhsa_exception_fp_ieee_invalid_op 0
		.amdhsa_exception_fp_denorm_src 0
		.amdhsa_exception_fp_ieee_div_zero 0
		.amdhsa_exception_fp_ieee_overflow 0
		.amdhsa_exception_fp_ieee_underflow 0
		.amdhsa_exception_fp_ieee_inexact 0
		.amdhsa_exception_int_div_zero 0
	.end_amdhsa_kernel
	.section	.text._Z17warp_store_kernelILj1024ELj4ELj1ELN7rocprim17ROCPRIM_304000_NS17warp_store_methodE2E12hip_bfloat16EvPT3_S5_,"axG",@progbits,_Z17warp_store_kernelILj1024ELj4ELj1ELN7rocprim17ROCPRIM_304000_NS17warp_store_methodE2E12hip_bfloat16EvPT3_S5_,comdat
.Lfunc_end1:
	.size	_Z17warp_store_kernelILj1024ELj4ELj1ELN7rocprim17ROCPRIM_304000_NS17warp_store_methodE2E12hip_bfloat16EvPT3_S5_, .Lfunc_end1-_Z17warp_store_kernelILj1024ELj4ELj1ELN7rocprim17ROCPRIM_304000_NS17warp_store_methodE2E12hip_bfloat16EvPT3_S5_
                                        ; -- End function
	.set _Z17warp_store_kernelILj1024ELj4ELj1ELN7rocprim17ROCPRIM_304000_NS17warp_store_methodE2E12hip_bfloat16EvPT3_S5_.num_vgpr, 3
	.set _Z17warp_store_kernelILj1024ELj4ELj1ELN7rocprim17ROCPRIM_304000_NS17warp_store_methodE2E12hip_bfloat16EvPT3_S5_.num_agpr, 0
	.set _Z17warp_store_kernelILj1024ELj4ELj1ELN7rocprim17ROCPRIM_304000_NS17warp_store_methodE2E12hip_bfloat16EvPT3_S5_.numbered_sgpr, 6
	.set _Z17warp_store_kernelILj1024ELj4ELj1ELN7rocprim17ROCPRIM_304000_NS17warp_store_methodE2E12hip_bfloat16EvPT3_S5_.num_named_barrier, 0
	.set _Z17warp_store_kernelILj1024ELj4ELj1ELN7rocprim17ROCPRIM_304000_NS17warp_store_methodE2E12hip_bfloat16EvPT3_S5_.private_seg_size, 0
	.set _Z17warp_store_kernelILj1024ELj4ELj1ELN7rocprim17ROCPRIM_304000_NS17warp_store_methodE2E12hip_bfloat16EvPT3_S5_.uses_vcc, 0
	.set _Z17warp_store_kernelILj1024ELj4ELj1ELN7rocprim17ROCPRIM_304000_NS17warp_store_methodE2E12hip_bfloat16EvPT3_S5_.uses_flat_scratch, 0
	.set _Z17warp_store_kernelILj1024ELj4ELj1ELN7rocprim17ROCPRIM_304000_NS17warp_store_methodE2E12hip_bfloat16EvPT3_S5_.has_dyn_sized_stack, 0
	.set _Z17warp_store_kernelILj1024ELj4ELj1ELN7rocprim17ROCPRIM_304000_NS17warp_store_methodE2E12hip_bfloat16EvPT3_S5_.has_recursion, 0
	.set _Z17warp_store_kernelILj1024ELj4ELj1ELN7rocprim17ROCPRIM_304000_NS17warp_store_methodE2E12hip_bfloat16EvPT3_S5_.has_indirect_call, 0
	.section	.AMDGPU.csdata,"",@progbits
; Kernel info:
; codeLenInByte = 40
; TotalNumSgprs: 10
; NumVgprs: 3
; ScratchSize: 0
; MemoryBound: 0
; FloatMode: 240
; IeeeMode: 1
; LDSByteSize: 0 bytes/workgroup (compile time only)
; SGPRBlocks: 1
; VGPRBlocks: 0
; NumSGPRsForWavesPerEU: 10
; NumVGPRsForWavesPerEU: 3
; Occupancy: 10
; WaveLimiterHint : 0
; COMPUTE_PGM_RSRC2:SCRATCH_EN: 0
; COMPUTE_PGM_RSRC2:USER_SGPR: 6
; COMPUTE_PGM_RSRC2:TRAP_HANDLER: 0
; COMPUTE_PGM_RSRC2:TGID_X_EN: 1
; COMPUTE_PGM_RSRC2:TGID_Y_EN: 0
; COMPUTE_PGM_RSRC2:TGID_Z_EN: 0
; COMPUTE_PGM_RSRC2:TIDIG_COMP_CNT: 0
	.section	.text._Z17warp_store_kernelILj1024ELj4ELj1ELN7rocprim17ROCPRIM_304000_NS17warp_store_methodE1E12hip_bfloat16EvPT3_S5_,"axG",@progbits,_Z17warp_store_kernelILj1024ELj4ELj1ELN7rocprim17ROCPRIM_304000_NS17warp_store_methodE1E12hip_bfloat16EvPT3_S5_,comdat
	.protected	_Z17warp_store_kernelILj1024ELj4ELj1ELN7rocprim17ROCPRIM_304000_NS17warp_store_methodE1E12hip_bfloat16EvPT3_S5_ ; -- Begin function _Z17warp_store_kernelILj1024ELj4ELj1ELN7rocprim17ROCPRIM_304000_NS17warp_store_methodE1E12hip_bfloat16EvPT3_S5_
	.globl	_Z17warp_store_kernelILj1024ELj4ELj1ELN7rocprim17ROCPRIM_304000_NS17warp_store_methodE1E12hip_bfloat16EvPT3_S5_
	.p2align	8
	.type	_Z17warp_store_kernelILj1024ELj4ELj1ELN7rocprim17ROCPRIM_304000_NS17warp_store_methodE1E12hip_bfloat16EvPT3_S5_,@function
_Z17warp_store_kernelILj1024ELj4ELj1ELN7rocprim17ROCPRIM_304000_NS17warp_store_methodE1E12hip_bfloat16EvPT3_S5_: ; @_Z17warp_store_kernelILj1024ELj4ELj1ELN7rocprim17ROCPRIM_304000_NS17warp_store_methodE1E12hip_bfloat16EvPT3_S5_
; %bb.0:
	s_load_dwordx4 s[0:3], s[4:5], 0x0
	v_lshlrev_b32_e32 v2, 3, v0
	s_waitcnt lgkmcnt(0)
	global_load_dwordx2 v[0:1], v2, s[0:1]
	s_waitcnt vmcnt(0)
	global_store_dwordx2 v2, v[0:1], s[2:3]
	s_endpgm
	.section	.rodata,"a",@progbits
	.p2align	6, 0x0
	.amdhsa_kernel _Z17warp_store_kernelILj1024ELj4ELj1ELN7rocprim17ROCPRIM_304000_NS17warp_store_methodE1E12hip_bfloat16EvPT3_S5_
		.amdhsa_group_segment_fixed_size 0
		.amdhsa_private_segment_fixed_size 0
		.amdhsa_kernarg_size 16
		.amdhsa_user_sgpr_count 6
		.amdhsa_user_sgpr_private_segment_buffer 1
		.amdhsa_user_sgpr_dispatch_ptr 0
		.amdhsa_user_sgpr_queue_ptr 0
		.amdhsa_user_sgpr_kernarg_segment_ptr 1
		.amdhsa_user_sgpr_dispatch_id 0
		.amdhsa_user_sgpr_flat_scratch_init 0
		.amdhsa_user_sgpr_private_segment_size 0
		.amdhsa_uses_dynamic_stack 0
		.amdhsa_system_sgpr_private_segment_wavefront_offset 0
		.amdhsa_system_sgpr_workgroup_id_x 1
		.amdhsa_system_sgpr_workgroup_id_y 0
		.amdhsa_system_sgpr_workgroup_id_z 0
		.amdhsa_system_sgpr_workgroup_info 0
		.amdhsa_system_vgpr_workitem_id 0
		.amdhsa_next_free_vgpr 3
		.amdhsa_next_free_sgpr 6
		.amdhsa_reserve_vcc 0
		.amdhsa_reserve_flat_scratch 0
		.amdhsa_float_round_mode_32 0
		.amdhsa_float_round_mode_16_64 0
		.amdhsa_float_denorm_mode_32 3
		.amdhsa_float_denorm_mode_16_64 3
		.amdhsa_dx10_clamp 1
		.amdhsa_ieee_mode 1
		.amdhsa_fp16_overflow 0
		.amdhsa_exception_fp_ieee_invalid_op 0
		.amdhsa_exception_fp_denorm_src 0
		.amdhsa_exception_fp_ieee_div_zero 0
		.amdhsa_exception_fp_ieee_overflow 0
		.amdhsa_exception_fp_ieee_underflow 0
		.amdhsa_exception_fp_ieee_inexact 0
		.amdhsa_exception_int_div_zero 0
	.end_amdhsa_kernel
	.section	.text._Z17warp_store_kernelILj1024ELj4ELj1ELN7rocprim17ROCPRIM_304000_NS17warp_store_methodE1E12hip_bfloat16EvPT3_S5_,"axG",@progbits,_Z17warp_store_kernelILj1024ELj4ELj1ELN7rocprim17ROCPRIM_304000_NS17warp_store_methodE1E12hip_bfloat16EvPT3_S5_,comdat
.Lfunc_end2:
	.size	_Z17warp_store_kernelILj1024ELj4ELj1ELN7rocprim17ROCPRIM_304000_NS17warp_store_methodE1E12hip_bfloat16EvPT3_S5_, .Lfunc_end2-_Z17warp_store_kernelILj1024ELj4ELj1ELN7rocprim17ROCPRIM_304000_NS17warp_store_methodE1E12hip_bfloat16EvPT3_S5_
                                        ; -- End function
	.set _Z17warp_store_kernelILj1024ELj4ELj1ELN7rocprim17ROCPRIM_304000_NS17warp_store_methodE1E12hip_bfloat16EvPT3_S5_.num_vgpr, 3
	.set _Z17warp_store_kernelILj1024ELj4ELj1ELN7rocprim17ROCPRIM_304000_NS17warp_store_methodE1E12hip_bfloat16EvPT3_S5_.num_agpr, 0
	.set _Z17warp_store_kernelILj1024ELj4ELj1ELN7rocprim17ROCPRIM_304000_NS17warp_store_methodE1E12hip_bfloat16EvPT3_S5_.numbered_sgpr, 6
	.set _Z17warp_store_kernelILj1024ELj4ELj1ELN7rocprim17ROCPRIM_304000_NS17warp_store_methodE1E12hip_bfloat16EvPT3_S5_.num_named_barrier, 0
	.set _Z17warp_store_kernelILj1024ELj4ELj1ELN7rocprim17ROCPRIM_304000_NS17warp_store_methodE1E12hip_bfloat16EvPT3_S5_.private_seg_size, 0
	.set _Z17warp_store_kernelILj1024ELj4ELj1ELN7rocprim17ROCPRIM_304000_NS17warp_store_methodE1E12hip_bfloat16EvPT3_S5_.uses_vcc, 0
	.set _Z17warp_store_kernelILj1024ELj4ELj1ELN7rocprim17ROCPRIM_304000_NS17warp_store_methodE1E12hip_bfloat16EvPT3_S5_.uses_flat_scratch, 0
	.set _Z17warp_store_kernelILj1024ELj4ELj1ELN7rocprim17ROCPRIM_304000_NS17warp_store_methodE1E12hip_bfloat16EvPT3_S5_.has_dyn_sized_stack, 0
	.set _Z17warp_store_kernelILj1024ELj4ELj1ELN7rocprim17ROCPRIM_304000_NS17warp_store_methodE1E12hip_bfloat16EvPT3_S5_.has_recursion, 0
	.set _Z17warp_store_kernelILj1024ELj4ELj1ELN7rocprim17ROCPRIM_304000_NS17warp_store_methodE1E12hip_bfloat16EvPT3_S5_.has_indirect_call, 0
	.section	.AMDGPU.csdata,"",@progbits
; Kernel info:
; codeLenInByte = 40
; TotalNumSgprs: 10
; NumVgprs: 3
; ScratchSize: 0
; MemoryBound: 0
; FloatMode: 240
; IeeeMode: 1
; LDSByteSize: 0 bytes/workgroup (compile time only)
; SGPRBlocks: 1
; VGPRBlocks: 0
; NumSGPRsForWavesPerEU: 10
; NumVGPRsForWavesPerEU: 3
; Occupancy: 10
; WaveLimiterHint : 0
; COMPUTE_PGM_RSRC2:SCRATCH_EN: 0
; COMPUTE_PGM_RSRC2:USER_SGPR: 6
; COMPUTE_PGM_RSRC2:TRAP_HANDLER: 0
; COMPUTE_PGM_RSRC2:TGID_X_EN: 1
; COMPUTE_PGM_RSRC2:TGID_Y_EN: 0
; COMPUTE_PGM_RSRC2:TGID_Z_EN: 0
; COMPUTE_PGM_RSRC2:TIDIG_COMP_CNT: 0
	.section	.text._Z17warp_store_kernelILj1024ELj4ELj1ELN7rocprim17ROCPRIM_304000_NS17warp_store_methodE0E12hip_bfloat16EvPT3_S5_,"axG",@progbits,_Z17warp_store_kernelILj1024ELj4ELj1ELN7rocprim17ROCPRIM_304000_NS17warp_store_methodE0E12hip_bfloat16EvPT3_S5_,comdat
	.protected	_Z17warp_store_kernelILj1024ELj4ELj1ELN7rocprim17ROCPRIM_304000_NS17warp_store_methodE0E12hip_bfloat16EvPT3_S5_ ; -- Begin function _Z17warp_store_kernelILj1024ELj4ELj1ELN7rocprim17ROCPRIM_304000_NS17warp_store_methodE0E12hip_bfloat16EvPT3_S5_
	.globl	_Z17warp_store_kernelILj1024ELj4ELj1ELN7rocprim17ROCPRIM_304000_NS17warp_store_methodE0E12hip_bfloat16EvPT3_S5_
	.p2align	8
	.type	_Z17warp_store_kernelILj1024ELj4ELj1ELN7rocprim17ROCPRIM_304000_NS17warp_store_methodE0E12hip_bfloat16EvPT3_S5_,@function
_Z17warp_store_kernelILj1024ELj4ELj1ELN7rocprim17ROCPRIM_304000_NS17warp_store_methodE0E12hip_bfloat16EvPT3_S5_: ; @_Z17warp_store_kernelILj1024ELj4ELj1ELN7rocprim17ROCPRIM_304000_NS17warp_store_methodE0E12hip_bfloat16EvPT3_S5_
; %bb.0:
	s_load_dwordx4 s[0:3], s[4:5], 0x0
	v_lshlrev_b32_e32 v2, 3, v0
	s_waitcnt lgkmcnt(0)
	global_load_dwordx2 v[0:1], v2, s[0:1]
	s_waitcnt vmcnt(0)
	global_store_dwordx2 v2, v[0:1], s[2:3]
	s_endpgm
	.section	.rodata,"a",@progbits
	.p2align	6, 0x0
	.amdhsa_kernel _Z17warp_store_kernelILj1024ELj4ELj1ELN7rocprim17ROCPRIM_304000_NS17warp_store_methodE0E12hip_bfloat16EvPT3_S5_
		.amdhsa_group_segment_fixed_size 0
		.amdhsa_private_segment_fixed_size 0
		.amdhsa_kernarg_size 16
		.amdhsa_user_sgpr_count 6
		.amdhsa_user_sgpr_private_segment_buffer 1
		.amdhsa_user_sgpr_dispatch_ptr 0
		.amdhsa_user_sgpr_queue_ptr 0
		.amdhsa_user_sgpr_kernarg_segment_ptr 1
		.amdhsa_user_sgpr_dispatch_id 0
		.amdhsa_user_sgpr_flat_scratch_init 0
		.amdhsa_user_sgpr_private_segment_size 0
		.amdhsa_uses_dynamic_stack 0
		.amdhsa_system_sgpr_private_segment_wavefront_offset 0
		.amdhsa_system_sgpr_workgroup_id_x 1
		.amdhsa_system_sgpr_workgroup_id_y 0
		.amdhsa_system_sgpr_workgroup_id_z 0
		.amdhsa_system_sgpr_workgroup_info 0
		.amdhsa_system_vgpr_workitem_id 0
		.amdhsa_next_free_vgpr 3
		.amdhsa_next_free_sgpr 6
		.amdhsa_reserve_vcc 0
		.amdhsa_reserve_flat_scratch 0
		.amdhsa_float_round_mode_32 0
		.amdhsa_float_round_mode_16_64 0
		.amdhsa_float_denorm_mode_32 3
		.amdhsa_float_denorm_mode_16_64 3
		.amdhsa_dx10_clamp 1
		.amdhsa_ieee_mode 1
		.amdhsa_fp16_overflow 0
		.amdhsa_exception_fp_ieee_invalid_op 0
		.amdhsa_exception_fp_denorm_src 0
		.amdhsa_exception_fp_ieee_div_zero 0
		.amdhsa_exception_fp_ieee_overflow 0
		.amdhsa_exception_fp_ieee_underflow 0
		.amdhsa_exception_fp_ieee_inexact 0
		.amdhsa_exception_int_div_zero 0
	.end_amdhsa_kernel
	.section	.text._Z17warp_store_kernelILj1024ELj4ELj1ELN7rocprim17ROCPRIM_304000_NS17warp_store_methodE0E12hip_bfloat16EvPT3_S5_,"axG",@progbits,_Z17warp_store_kernelILj1024ELj4ELj1ELN7rocprim17ROCPRIM_304000_NS17warp_store_methodE0E12hip_bfloat16EvPT3_S5_,comdat
.Lfunc_end3:
	.size	_Z17warp_store_kernelILj1024ELj4ELj1ELN7rocprim17ROCPRIM_304000_NS17warp_store_methodE0E12hip_bfloat16EvPT3_S5_, .Lfunc_end3-_Z17warp_store_kernelILj1024ELj4ELj1ELN7rocprim17ROCPRIM_304000_NS17warp_store_methodE0E12hip_bfloat16EvPT3_S5_
                                        ; -- End function
	.set _Z17warp_store_kernelILj1024ELj4ELj1ELN7rocprim17ROCPRIM_304000_NS17warp_store_methodE0E12hip_bfloat16EvPT3_S5_.num_vgpr, 3
	.set _Z17warp_store_kernelILj1024ELj4ELj1ELN7rocprim17ROCPRIM_304000_NS17warp_store_methodE0E12hip_bfloat16EvPT3_S5_.num_agpr, 0
	.set _Z17warp_store_kernelILj1024ELj4ELj1ELN7rocprim17ROCPRIM_304000_NS17warp_store_methodE0E12hip_bfloat16EvPT3_S5_.numbered_sgpr, 6
	.set _Z17warp_store_kernelILj1024ELj4ELj1ELN7rocprim17ROCPRIM_304000_NS17warp_store_methodE0E12hip_bfloat16EvPT3_S5_.num_named_barrier, 0
	.set _Z17warp_store_kernelILj1024ELj4ELj1ELN7rocprim17ROCPRIM_304000_NS17warp_store_methodE0E12hip_bfloat16EvPT3_S5_.private_seg_size, 0
	.set _Z17warp_store_kernelILj1024ELj4ELj1ELN7rocprim17ROCPRIM_304000_NS17warp_store_methodE0E12hip_bfloat16EvPT3_S5_.uses_vcc, 0
	.set _Z17warp_store_kernelILj1024ELj4ELj1ELN7rocprim17ROCPRIM_304000_NS17warp_store_methodE0E12hip_bfloat16EvPT3_S5_.uses_flat_scratch, 0
	.set _Z17warp_store_kernelILj1024ELj4ELj1ELN7rocprim17ROCPRIM_304000_NS17warp_store_methodE0E12hip_bfloat16EvPT3_S5_.has_dyn_sized_stack, 0
	.set _Z17warp_store_kernelILj1024ELj4ELj1ELN7rocprim17ROCPRIM_304000_NS17warp_store_methodE0E12hip_bfloat16EvPT3_S5_.has_recursion, 0
	.set _Z17warp_store_kernelILj1024ELj4ELj1ELN7rocprim17ROCPRIM_304000_NS17warp_store_methodE0E12hip_bfloat16EvPT3_S5_.has_indirect_call, 0
	.section	.AMDGPU.csdata,"",@progbits
; Kernel info:
; codeLenInByte = 40
; TotalNumSgprs: 10
; NumVgprs: 3
; ScratchSize: 0
; MemoryBound: 0
; FloatMode: 240
; IeeeMode: 1
; LDSByteSize: 0 bytes/workgroup (compile time only)
; SGPRBlocks: 1
; VGPRBlocks: 0
; NumSGPRsForWavesPerEU: 10
; NumVGPRsForWavesPerEU: 3
; Occupancy: 10
; WaveLimiterHint : 0
; COMPUTE_PGM_RSRC2:SCRATCH_EN: 0
; COMPUTE_PGM_RSRC2:USER_SGPR: 6
; COMPUTE_PGM_RSRC2:TRAP_HANDLER: 0
; COMPUTE_PGM_RSRC2:TGID_X_EN: 1
; COMPUTE_PGM_RSRC2:TGID_Y_EN: 0
; COMPUTE_PGM_RSRC2:TGID_Z_EN: 0
; COMPUTE_PGM_RSRC2:TIDIG_COMP_CNT: 0
	.section	.text._Z17warp_store_kernelILj1024ELj4ELj1ELN7rocprim17ROCPRIM_304000_NS17warp_store_methodE3EdEvPT3_S4_,"axG",@progbits,_Z17warp_store_kernelILj1024ELj4ELj1ELN7rocprim17ROCPRIM_304000_NS17warp_store_methodE3EdEvPT3_S4_,comdat
	.protected	_Z17warp_store_kernelILj1024ELj4ELj1ELN7rocprim17ROCPRIM_304000_NS17warp_store_methodE3EdEvPT3_S4_ ; -- Begin function _Z17warp_store_kernelILj1024ELj4ELj1ELN7rocprim17ROCPRIM_304000_NS17warp_store_methodE3EdEvPT3_S4_
	.globl	_Z17warp_store_kernelILj1024ELj4ELj1ELN7rocprim17ROCPRIM_304000_NS17warp_store_methodE3EdEvPT3_S4_
	.p2align	8
	.type	_Z17warp_store_kernelILj1024ELj4ELj1ELN7rocprim17ROCPRIM_304000_NS17warp_store_methodE3EdEvPT3_S4_,@function
_Z17warp_store_kernelILj1024ELj4ELj1ELN7rocprim17ROCPRIM_304000_NS17warp_store_methodE3EdEvPT3_S4_: ; @_Z17warp_store_kernelILj1024ELj4ELj1ELN7rocprim17ROCPRIM_304000_NS17warp_store_methodE3EdEvPT3_S4_
; %bb.0:
	s_load_dwordx4 s[0:3], s[4:5], 0x0
	v_lshlrev_b32_e32 v8, 5, v0
	s_waitcnt lgkmcnt(0)
	global_load_dwordx4 v[0:3], v8, s[0:1]
	global_load_dwordx4 v[4:7], v8, s[0:1] offset:16
	s_waitcnt vmcnt(1)
	ds_write_b128 v8, v[0:3]
	s_waitcnt vmcnt(0)
	ds_write_b128 v8, v[4:7] offset:16
	; wave barrier
	ds_read_b128 v[0:3], v8
	ds_read_b128 v[4:7], v8 offset:16
	s_waitcnt lgkmcnt(1)
	global_store_dwordx4 v8, v[0:3], s[2:3]
	s_waitcnt lgkmcnt(0)
	global_store_dwordx4 v8, v[4:7], s[2:3] offset:16
	s_endpgm
	.section	.rodata,"a",@progbits
	.p2align	6, 0x0
	.amdhsa_kernel _Z17warp_store_kernelILj1024ELj4ELj1ELN7rocprim17ROCPRIM_304000_NS17warp_store_methodE3EdEvPT3_S4_
		.amdhsa_group_segment_fixed_size 32768
		.amdhsa_private_segment_fixed_size 0
		.amdhsa_kernarg_size 16
		.amdhsa_user_sgpr_count 6
		.amdhsa_user_sgpr_private_segment_buffer 1
		.amdhsa_user_sgpr_dispatch_ptr 0
		.amdhsa_user_sgpr_queue_ptr 0
		.amdhsa_user_sgpr_kernarg_segment_ptr 1
		.amdhsa_user_sgpr_dispatch_id 0
		.amdhsa_user_sgpr_flat_scratch_init 0
		.amdhsa_user_sgpr_private_segment_size 0
		.amdhsa_uses_dynamic_stack 0
		.amdhsa_system_sgpr_private_segment_wavefront_offset 0
		.amdhsa_system_sgpr_workgroup_id_x 1
		.amdhsa_system_sgpr_workgroup_id_y 0
		.amdhsa_system_sgpr_workgroup_id_z 0
		.amdhsa_system_sgpr_workgroup_info 0
		.amdhsa_system_vgpr_workitem_id 0
		.amdhsa_next_free_vgpr 29
		.amdhsa_next_free_sgpr 61
		.amdhsa_reserve_vcc 0
		.amdhsa_reserve_flat_scratch 0
		.amdhsa_float_round_mode_32 0
		.amdhsa_float_round_mode_16_64 0
		.amdhsa_float_denorm_mode_32 3
		.amdhsa_float_denorm_mode_16_64 3
		.amdhsa_dx10_clamp 1
		.amdhsa_ieee_mode 1
		.amdhsa_fp16_overflow 0
		.amdhsa_exception_fp_ieee_invalid_op 0
		.amdhsa_exception_fp_denorm_src 0
		.amdhsa_exception_fp_ieee_div_zero 0
		.amdhsa_exception_fp_ieee_overflow 0
		.amdhsa_exception_fp_ieee_underflow 0
		.amdhsa_exception_fp_ieee_inexact 0
		.amdhsa_exception_int_div_zero 0
	.end_amdhsa_kernel
	.section	.text._Z17warp_store_kernelILj1024ELj4ELj1ELN7rocprim17ROCPRIM_304000_NS17warp_store_methodE3EdEvPT3_S4_,"axG",@progbits,_Z17warp_store_kernelILj1024ELj4ELj1ELN7rocprim17ROCPRIM_304000_NS17warp_store_methodE3EdEvPT3_S4_,comdat
.Lfunc_end4:
	.size	_Z17warp_store_kernelILj1024ELj4ELj1ELN7rocprim17ROCPRIM_304000_NS17warp_store_methodE3EdEvPT3_S4_, .Lfunc_end4-_Z17warp_store_kernelILj1024ELj4ELj1ELN7rocprim17ROCPRIM_304000_NS17warp_store_methodE3EdEvPT3_S4_
                                        ; -- End function
	.set _Z17warp_store_kernelILj1024ELj4ELj1ELN7rocprim17ROCPRIM_304000_NS17warp_store_methodE3EdEvPT3_S4_.num_vgpr, 9
	.set _Z17warp_store_kernelILj1024ELj4ELj1ELN7rocprim17ROCPRIM_304000_NS17warp_store_methodE3EdEvPT3_S4_.num_agpr, 0
	.set _Z17warp_store_kernelILj1024ELj4ELj1ELN7rocprim17ROCPRIM_304000_NS17warp_store_methodE3EdEvPT3_S4_.numbered_sgpr, 6
	.set _Z17warp_store_kernelILj1024ELj4ELj1ELN7rocprim17ROCPRIM_304000_NS17warp_store_methodE3EdEvPT3_S4_.num_named_barrier, 0
	.set _Z17warp_store_kernelILj1024ELj4ELj1ELN7rocprim17ROCPRIM_304000_NS17warp_store_methodE3EdEvPT3_S4_.private_seg_size, 0
	.set _Z17warp_store_kernelILj1024ELj4ELj1ELN7rocprim17ROCPRIM_304000_NS17warp_store_methodE3EdEvPT3_S4_.uses_vcc, 0
	.set _Z17warp_store_kernelILj1024ELj4ELj1ELN7rocprim17ROCPRIM_304000_NS17warp_store_methodE3EdEvPT3_S4_.uses_flat_scratch, 0
	.set _Z17warp_store_kernelILj1024ELj4ELj1ELN7rocprim17ROCPRIM_304000_NS17warp_store_methodE3EdEvPT3_S4_.has_dyn_sized_stack, 0
	.set _Z17warp_store_kernelILj1024ELj4ELj1ELN7rocprim17ROCPRIM_304000_NS17warp_store_methodE3EdEvPT3_S4_.has_recursion, 0
	.set _Z17warp_store_kernelILj1024ELj4ELj1ELN7rocprim17ROCPRIM_304000_NS17warp_store_methodE3EdEvPT3_S4_.has_indirect_call, 0
	.section	.AMDGPU.csdata,"",@progbits
; Kernel info:
; codeLenInByte = 100
; TotalNumSgprs: 10
; NumVgprs: 9
; ScratchSize: 0
; MemoryBound: 1
; FloatMode: 240
; IeeeMode: 1
; LDSByteSize: 32768 bytes/workgroup (compile time only)
; SGPRBlocks: 8
; VGPRBlocks: 7
; NumSGPRsForWavesPerEU: 65
; NumVGPRsForWavesPerEU: 29
; Occupancy: 8
; WaveLimiterHint : 1
; COMPUTE_PGM_RSRC2:SCRATCH_EN: 0
; COMPUTE_PGM_RSRC2:USER_SGPR: 6
; COMPUTE_PGM_RSRC2:TRAP_HANDLER: 0
; COMPUTE_PGM_RSRC2:TGID_X_EN: 1
; COMPUTE_PGM_RSRC2:TGID_Y_EN: 0
; COMPUTE_PGM_RSRC2:TGID_Z_EN: 0
; COMPUTE_PGM_RSRC2:TIDIG_COMP_CNT: 0
	.section	.text._Z17warp_store_kernelILj1024ELj4ELj1ELN7rocprim17ROCPRIM_304000_NS17warp_store_methodE2EdEvPT3_S4_,"axG",@progbits,_Z17warp_store_kernelILj1024ELj4ELj1ELN7rocprim17ROCPRIM_304000_NS17warp_store_methodE2EdEvPT3_S4_,comdat
	.protected	_Z17warp_store_kernelILj1024ELj4ELj1ELN7rocprim17ROCPRIM_304000_NS17warp_store_methodE2EdEvPT3_S4_ ; -- Begin function _Z17warp_store_kernelILj1024ELj4ELj1ELN7rocprim17ROCPRIM_304000_NS17warp_store_methodE2EdEvPT3_S4_
	.globl	_Z17warp_store_kernelILj1024ELj4ELj1ELN7rocprim17ROCPRIM_304000_NS17warp_store_methodE2EdEvPT3_S4_
	.p2align	8
	.type	_Z17warp_store_kernelILj1024ELj4ELj1ELN7rocprim17ROCPRIM_304000_NS17warp_store_methodE2EdEvPT3_S4_,@function
_Z17warp_store_kernelILj1024ELj4ELj1ELN7rocprim17ROCPRIM_304000_NS17warp_store_methodE2EdEvPT3_S4_: ; @_Z17warp_store_kernelILj1024ELj4ELj1ELN7rocprim17ROCPRIM_304000_NS17warp_store_methodE2EdEvPT3_S4_
; %bb.0:
	s_load_dwordx4 s[0:3], s[4:5], 0x0
	v_lshlrev_b32_e32 v8, 5, v0
	s_waitcnt lgkmcnt(0)
	global_load_dwordx4 v[0:3], v8, s[0:1]
	global_load_dwordx4 v[4:7], v8, s[0:1] offset:16
	s_waitcnt vmcnt(1)
	global_store_dwordx4 v8, v[0:3], s[2:3]
	s_waitcnt vmcnt(1)
	global_store_dwordx4 v8, v[4:7], s[2:3] offset:16
	s_endpgm
	.section	.rodata,"a",@progbits
	.p2align	6, 0x0
	.amdhsa_kernel _Z17warp_store_kernelILj1024ELj4ELj1ELN7rocprim17ROCPRIM_304000_NS17warp_store_methodE2EdEvPT3_S4_
		.amdhsa_group_segment_fixed_size 0
		.amdhsa_private_segment_fixed_size 0
		.amdhsa_kernarg_size 16
		.amdhsa_user_sgpr_count 6
		.amdhsa_user_sgpr_private_segment_buffer 1
		.amdhsa_user_sgpr_dispatch_ptr 0
		.amdhsa_user_sgpr_queue_ptr 0
		.amdhsa_user_sgpr_kernarg_segment_ptr 1
		.amdhsa_user_sgpr_dispatch_id 0
		.amdhsa_user_sgpr_flat_scratch_init 0
		.amdhsa_user_sgpr_private_segment_size 0
		.amdhsa_uses_dynamic_stack 0
		.amdhsa_system_sgpr_private_segment_wavefront_offset 0
		.amdhsa_system_sgpr_workgroup_id_x 1
		.amdhsa_system_sgpr_workgroup_id_y 0
		.amdhsa_system_sgpr_workgroup_id_z 0
		.amdhsa_system_sgpr_workgroup_info 0
		.amdhsa_system_vgpr_workitem_id 0
		.amdhsa_next_free_vgpr 9
		.amdhsa_next_free_sgpr 6
		.amdhsa_reserve_vcc 0
		.amdhsa_reserve_flat_scratch 0
		.amdhsa_float_round_mode_32 0
		.amdhsa_float_round_mode_16_64 0
		.amdhsa_float_denorm_mode_32 3
		.amdhsa_float_denorm_mode_16_64 3
		.amdhsa_dx10_clamp 1
		.amdhsa_ieee_mode 1
		.amdhsa_fp16_overflow 0
		.amdhsa_exception_fp_ieee_invalid_op 0
		.amdhsa_exception_fp_denorm_src 0
		.amdhsa_exception_fp_ieee_div_zero 0
		.amdhsa_exception_fp_ieee_overflow 0
		.amdhsa_exception_fp_ieee_underflow 0
		.amdhsa_exception_fp_ieee_inexact 0
		.amdhsa_exception_int_div_zero 0
	.end_amdhsa_kernel
	.section	.text._Z17warp_store_kernelILj1024ELj4ELj1ELN7rocprim17ROCPRIM_304000_NS17warp_store_methodE2EdEvPT3_S4_,"axG",@progbits,_Z17warp_store_kernelILj1024ELj4ELj1ELN7rocprim17ROCPRIM_304000_NS17warp_store_methodE2EdEvPT3_S4_,comdat
.Lfunc_end5:
	.size	_Z17warp_store_kernelILj1024ELj4ELj1ELN7rocprim17ROCPRIM_304000_NS17warp_store_methodE2EdEvPT3_S4_, .Lfunc_end5-_Z17warp_store_kernelILj1024ELj4ELj1ELN7rocprim17ROCPRIM_304000_NS17warp_store_methodE2EdEvPT3_S4_
                                        ; -- End function
	.set _Z17warp_store_kernelILj1024ELj4ELj1ELN7rocprim17ROCPRIM_304000_NS17warp_store_methodE2EdEvPT3_S4_.num_vgpr, 9
	.set _Z17warp_store_kernelILj1024ELj4ELj1ELN7rocprim17ROCPRIM_304000_NS17warp_store_methodE2EdEvPT3_S4_.num_agpr, 0
	.set _Z17warp_store_kernelILj1024ELj4ELj1ELN7rocprim17ROCPRIM_304000_NS17warp_store_methodE2EdEvPT3_S4_.numbered_sgpr, 6
	.set _Z17warp_store_kernelILj1024ELj4ELj1ELN7rocprim17ROCPRIM_304000_NS17warp_store_methodE2EdEvPT3_S4_.num_named_barrier, 0
	.set _Z17warp_store_kernelILj1024ELj4ELj1ELN7rocprim17ROCPRIM_304000_NS17warp_store_methodE2EdEvPT3_S4_.private_seg_size, 0
	.set _Z17warp_store_kernelILj1024ELj4ELj1ELN7rocprim17ROCPRIM_304000_NS17warp_store_methodE2EdEvPT3_S4_.uses_vcc, 0
	.set _Z17warp_store_kernelILj1024ELj4ELj1ELN7rocprim17ROCPRIM_304000_NS17warp_store_methodE2EdEvPT3_S4_.uses_flat_scratch, 0
	.set _Z17warp_store_kernelILj1024ELj4ELj1ELN7rocprim17ROCPRIM_304000_NS17warp_store_methodE2EdEvPT3_S4_.has_dyn_sized_stack, 0
	.set _Z17warp_store_kernelILj1024ELj4ELj1ELN7rocprim17ROCPRIM_304000_NS17warp_store_methodE2EdEvPT3_S4_.has_recursion, 0
	.set _Z17warp_store_kernelILj1024ELj4ELj1ELN7rocprim17ROCPRIM_304000_NS17warp_store_methodE2EdEvPT3_S4_.has_indirect_call, 0
	.section	.AMDGPU.csdata,"",@progbits
; Kernel info:
; codeLenInByte = 60
; TotalNumSgprs: 10
; NumVgprs: 9
; ScratchSize: 0
; MemoryBound: 1
; FloatMode: 240
; IeeeMode: 1
; LDSByteSize: 0 bytes/workgroup (compile time only)
; SGPRBlocks: 1
; VGPRBlocks: 2
; NumSGPRsForWavesPerEU: 10
; NumVGPRsForWavesPerEU: 9
; Occupancy: 10
; WaveLimiterHint : 1
; COMPUTE_PGM_RSRC2:SCRATCH_EN: 0
; COMPUTE_PGM_RSRC2:USER_SGPR: 6
; COMPUTE_PGM_RSRC2:TRAP_HANDLER: 0
; COMPUTE_PGM_RSRC2:TGID_X_EN: 1
; COMPUTE_PGM_RSRC2:TGID_Y_EN: 0
; COMPUTE_PGM_RSRC2:TGID_Z_EN: 0
; COMPUTE_PGM_RSRC2:TIDIG_COMP_CNT: 0
	.section	.text._Z17warp_store_kernelILj1024ELj4ELj1ELN7rocprim17ROCPRIM_304000_NS17warp_store_methodE1EdEvPT3_S4_,"axG",@progbits,_Z17warp_store_kernelILj1024ELj4ELj1ELN7rocprim17ROCPRIM_304000_NS17warp_store_methodE1EdEvPT3_S4_,comdat
	.protected	_Z17warp_store_kernelILj1024ELj4ELj1ELN7rocprim17ROCPRIM_304000_NS17warp_store_methodE1EdEvPT3_S4_ ; -- Begin function _Z17warp_store_kernelILj1024ELj4ELj1ELN7rocprim17ROCPRIM_304000_NS17warp_store_methodE1EdEvPT3_S4_
	.globl	_Z17warp_store_kernelILj1024ELj4ELj1ELN7rocprim17ROCPRIM_304000_NS17warp_store_methodE1EdEvPT3_S4_
	.p2align	8
	.type	_Z17warp_store_kernelILj1024ELj4ELj1ELN7rocprim17ROCPRIM_304000_NS17warp_store_methodE1EdEvPT3_S4_,@function
_Z17warp_store_kernelILj1024ELj4ELj1ELN7rocprim17ROCPRIM_304000_NS17warp_store_methodE1EdEvPT3_S4_: ; @_Z17warp_store_kernelILj1024ELj4ELj1ELN7rocprim17ROCPRIM_304000_NS17warp_store_methodE1EdEvPT3_S4_
; %bb.0:
	s_load_dwordx4 s[0:3], s[4:5], 0x0
	v_lshlrev_b32_e32 v8, 5, v0
	s_waitcnt lgkmcnt(0)
	global_load_dwordx4 v[0:3], v8, s[0:1]
	global_load_dwordx4 v[4:7], v8, s[0:1] offset:16
	s_waitcnt vmcnt(1)
	global_store_dwordx4 v8, v[0:3], s[2:3]
	s_waitcnt vmcnt(1)
	global_store_dwordx4 v8, v[4:7], s[2:3] offset:16
	s_endpgm
	.section	.rodata,"a",@progbits
	.p2align	6, 0x0
	.amdhsa_kernel _Z17warp_store_kernelILj1024ELj4ELj1ELN7rocprim17ROCPRIM_304000_NS17warp_store_methodE1EdEvPT3_S4_
		.amdhsa_group_segment_fixed_size 0
		.amdhsa_private_segment_fixed_size 0
		.amdhsa_kernarg_size 16
		.amdhsa_user_sgpr_count 6
		.amdhsa_user_sgpr_private_segment_buffer 1
		.amdhsa_user_sgpr_dispatch_ptr 0
		.amdhsa_user_sgpr_queue_ptr 0
		.amdhsa_user_sgpr_kernarg_segment_ptr 1
		.amdhsa_user_sgpr_dispatch_id 0
		.amdhsa_user_sgpr_flat_scratch_init 0
		.amdhsa_user_sgpr_private_segment_size 0
		.amdhsa_uses_dynamic_stack 0
		.amdhsa_system_sgpr_private_segment_wavefront_offset 0
		.amdhsa_system_sgpr_workgroup_id_x 1
		.amdhsa_system_sgpr_workgroup_id_y 0
		.amdhsa_system_sgpr_workgroup_id_z 0
		.amdhsa_system_sgpr_workgroup_info 0
		.amdhsa_system_vgpr_workitem_id 0
		.amdhsa_next_free_vgpr 9
		.amdhsa_next_free_sgpr 6
		.amdhsa_reserve_vcc 0
		.amdhsa_reserve_flat_scratch 0
		.amdhsa_float_round_mode_32 0
		.amdhsa_float_round_mode_16_64 0
		.amdhsa_float_denorm_mode_32 3
		.amdhsa_float_denorm_mode_16_64 3
		.amdhsa_dx10_clamp 1
		.amdhsa_ieee_mode 1
		.amdhsa_fp16_overflow 0
		.amdhsa_exception_fp_ieee_invalid_op 0
		.amdhsa_exception_fp_denorm_src 0
		.amdhsa_exception_fp_ieee_div_zero 0
		.amdhsa_exception_fp_ieee_overflow 0
		.amdhsa_exception_fp_ieee_underflow 0
		.amdhsa_exception_fp_ieee_inexact 0
		.amdhsa_exception_int_div_zero 0
	.end_amdhsa_kernel
	.section	.text._Z17warp_store_kernelILj1024ELj4ELj1ELN7rocprim17ROCPRIM_304000_NS17warp_store_methodE1EdEvPT3_S4_,"axG",@progbits,_Z17warp_store_kernelILj1024ELj4ELj1ELN7rocprim17ROCPRIM_304000_NS17warp_store_methodE1EdEvPT3_S4_,comdat
.Lfunc_end6:
	.size	_Z17warp_store_kernelILj1024ELj4ELj1ELN7rocprim17ROCPRIM_304000_NS17warp_store_methodE1EdEvPT3_S4_, .Lfunc_end6-_Z17warp_store_kernelILj1024ELj4ELj1ELN7rocprim17ROCPRIM_304000_NS17warp_store_methodE1EdEvPT3_S4_
                                        ; -- End function
	.set _Z17warp_store_kernelILj1024ELj4ELj1ELN7rocprim17ROCPRIM_304000_NS17warp_store_methodE1EdEvPT3_S4_.num_vgpr, 9
	.set _Z17warp_store_kernelILj1024ELj4ELj1ELN7rocprim17ROCPRIM_304000_NS17warp_store_methodE1EdEvPT3_S4_.num_agpr, 0
	.set _Z17warp_store_kernelILj1024ELj4ELj1ELN7rocprim17ROCPRIM_304000_NS17warp_store_methodE1EdEvPT3_S4_.numbered_sgpr, 6
	.set _Z17warp_store_kernelILj1024ELj4ELj1ELN7rocprim17ROCPRIM_304000_NS17warp_store_methodE1EdEvPT3_S4_.num_named_barrier, 0
	.set _Z17warp_store_kernelILj1024ELj4ELj1ELN7rocprim17ROCPRIM_304000_NS17warp_store_methodE1EdEvPT3_S4_.private_seg_size, 0
	.set _Z17warp_store_kernelILj1024ELj4ELj1ELN7rocprim17ROCPRIM_304000_NS17warp_store_methodE1EdEvPT3_S4_.uses_vcc, 0
	.set _Z17warp_store_kernelILj1024ELj4ELj1ELN7rocprim17ROCPRIM_304000_NS17warp_store_methodE1EdEvPT3_S4_.uses_flat_scratch, 0
	.set _Z17warp_store_kernelILj1024ELj4ELj1ELN7rocprim17ROCPRIM_304000_NS17warp_store_methodE1EdEvPT3_S4_.has_dyn_sized_stack, 0
	.set _Z17warp_store_kernelILj1024ELj4ELj1ELN7rocprim17ROCPRIM_304000_NS17warp_store_methodE1EdEvPT3_S4_.has_recursion, 0
	.set _Z17warp_store_kernelILj1024ELj4ELj1ELN7rocprim17ROCPRIM_304000_NS17warp_store_methodE1EdEvPT3_S4_.has_indirect_call, 0
	.section	.AMDGPU.csdata,"",@progbits
; Kernel info:
; codeLenInByte = 60
; TotalNumSgprs: 10
; NumVgprs: 9
; ScratchSize: 0
; MemoryBound: 1
; FloatMode: 240
; IeeeMode: 1
; LDSByteSize: 0 bytes/workgroup (compile time only)
; SGPRBlocks: 1
; VGPRBlocks: 2
; NumSGPRsForWavesPerEU: 10
; NumVGPRsForWavesPerEU: 9
; Occupancy: 10
; WaveLimiterHint : 1
; COMPUTE_PGM_RSRC2:SCRATCH_EN: 0
; COMPUTE_PGM_RSRC2:USER_SGPR: 6
; COMPUTE_PGM_RSRC2:TRAP_HANDLER: 0
; COMPUTE_PGM_RSRC2:TGID_X_EN: 1
; COMPUTE_PGM_RSRC2:TGID_Y_EN: 0
; COMPUTE_PGM_RSRC2:TGID_Z_EN: 0
; COMPUTE_PGM_RSRC2:TIDIG_COMP_CNT: 0
	.section	.text._Z17warp_store_kernelILj1024ELj4ELj1ELN7rocprim17ROCPRIM_304000_NS17warp_store_methodE0EdEvPT3_S4_,"axG",@progbits,_Z17warp_store_kernelILj1024ELj4ELj1ELN7rocprim17ROCPRIM_304000_NS17warp_store_methodE0EdEvPT3_S4_,comdat
	.protected	_Z17warp_store_kernelILj1024ELj4ELj1ELN7rocprim17ROCPRIM_304000_NS17warp_store_methodE0EdEvPT3_S4_ ; -- Begin function _Z17warp_store_kernelILj1024ELj4ELj1ELN7rocprim17ROCPRIM_304000_NS17warp_store_methodE0EdEvPT3_S4_
	.globl	_Z17warp_store_kernelILj1024ELj4ELj1ELN7rocprim17ROCPRIM_304000_NS17warp_store_methodE0EdEvPT3_S4_
	.p2align	8
	.type	_Z17warp_store_kernelILj1024ELj4ELj1ELN7rocprim17ROCPRIM_304000_NS17warp_store_methodE0EdEvPT3_S4_,@function
_Z17warp_store_kernelILj1024ELj4ELj1ELN7rocprim17ROCPRIM_304000_NS17warp_store_methodE0EdEvPT3_S4_: ; @_Z17warp_store_kernelILj1024ELj4ELj1ELN7rocprim17ROCPRIM_304000_NS17warp_store_methodE0EdEvPT3_S4_
; %bb.0:
	s_load_dwordx4 s[0:3], s[4:5], 0x0
	v_lshlrev_b32_e32 v8, 5, v0
	s_waitcnt lgkmcnt(0)
	global_load_dwordx4 v[0:3], v8, s[0:1]
	global_load_dwordx4 v[4:7], v8, s[0:1] offset:16
	s_waitcnt vmcnt(1)
	global_store_dwordx4 v8, v[0:3], s[2:3]
	s_waitcnt vmcnt(1)
	global_store_dwordx4 v8, v[4:7], s[2:3] offset:16
	s_endpgm
	.section	.rodata,"a",@progbits
	.p2align	6, 0x0
	.amdhsa_kernel _Z17warp_store_kernelILj1024ELj4ELj1ELN7rocprim17ROCPRIM_304000_NS17warp_store_methodE0EdEvPT3_S4_
		.amdhsa_group_segment_fixed_size 0
		.amdhsa_private_segment_fixed_size 0
		.amdhsa_kernarg_size 16
		.amdhsa_user_sgpr_count 6
		.amdhsa_user_sgpr_private_segment_buffer 1
		.amdhsa_user_sgpr_dispatch_ptr 0
		.amdhsa_user_sgpr_queue_ptr 0
		.amdhsa_user_sgpr_kernarg_segment_ptr 1
		.amdhsa_user_sgpr_dispatch_id 0
		.amdhsa_user_sgpr_flat_scratch_init 0
		.amdhsa_user_sgpr_private_segment_size 0
		.amdhsa_uses_dynamic_stack 0
		.amdhsa_system_sgpr_private_segment_wavefront_offset 0
		.amdhsa_system_sgpr_workgroup_id_x 1
		.amdhsa_system_sgpr_workgroup_id_y 0
		.amdhsa_system_sgpr_workgroup_id_z 0
		.amdhsa_system_sgpr_workgroup_info 0
		.amdhsa_system_vgpr_workitem_id 0
		.amdhsa_next_free_vgpr 9
		.amdhsa_next_free_sgpr 6
		.amdhsa_reserve_vcc 0
		.amdhsa_reserve_flat_scratch 0
		.amdhsa_float_round_mode_32 0
		.amdhsa_float_round_mode_16_64 0
		.amdhsa_float_denorm_mode_32 3
		.amdhsa_float_denorm_mode_16_64 3
		.amdhsa_dx10_clamp 1
		.amdhsa_ieee_mode 1
		.amdhsa_fp16_overflow 0
		.amdhsa_exception_fp_ieee_invalid_op 0
		.amdhsa_exception_fp_denorm_src 0
		.amdhsa_exception_fp_ieee_div_zero 0
		.amdhsa_exception_fp_ieee_overflow 0
		.amdhsa_exception_fp_ieee_underflow 0
		.amdhsa_exception_fp_ieee_inexact 0
		.amdhsa_exception_int_div_zero 0
	.end_amdhsa_kernel
	.section	.text._Z17warp_store_kernelILj1024ELj4ELj1ELN7rocprim17ROCPRIM_304000_NS17warp_store_methodE0EdEvPT3_S4_,"axG",@progbits,_Z17warp_store_kernelILj1024ELj4ELj1ELN7rocprim17ROCPRIM_304000_NS17warp_store_methodE0EdEvPT3_S4_,comdat
.Lfunc_end7:
	.size	_Z17warp_store_kernelILj1024ELj4ELj1ELN7rocprim17ROCPRIM_304000_NS17warp_store_methodE0EdEvPT3_S4_, .Lfunc_end7-_Z17warp_store_kernelILj1024ELj4ELj1ELN7rocprim17ROCPRIM_304000_NS17warp_store_methodE0EdEvPT3_S4_
                                        ; -- End function
	.set _Z17warp_store_kernelILj1024ELj4ELj1ELN7rocprim17ROCPRIM_304000_NS17warp_store_methodE0EdEvPT3_S4_.num_vgpr, 9
	.set _Z17warp_store_kernelILj1024ELj4ELj1ELN7rocprim17ROCPRIM_304000_NS17warp_store_methodE0EdEvPT3_S4_.num_agpr, 0
	.set _Z17warp_store_kernelILj1024ELj4ELj1ELN7rocprim17ROCPRIM_304000_NS17warp_store_methodE0EdEvPT3_S4_.numbered_sgpr, 6
	.set _Z17warp_store_kernelILj1024ELj4ELj1ELN7rocprim17ROCPRIM_304000_NS17warp_store_methodE0EdEvPT3_S4_.num_named_barrier, 0
	.set _Z17warp_store_kernelILj1024ELj4ELj1ELN7rocprim17ROCPRIM_304000_NS17warp_store_methodE0EdEvPT3_S4_.private_seg_size, 0
	.set _Z17warp_store_kernelILj1024ELj4ELj1ELN7rocprim17ROCPRIM_304000_NS17warp_store_methodE0EdEvPT3_S4_.uses_vcc, 0
	.set _Z17warp_store_kernelILj1024ELj4ELj1ELN7rocprim17ROCPRIM_304000_NS17warp_store_methodE0EdEvPT3_S4_.uses_flat_scratch, 0
	.set _Z17warp_store_kernelILj1024ELj4ELj1ELN7rocprim17ROCPRIM_304000_NS17warp_store_methodE0EdEvPT3_S4_.has_dyn_sized_stack, 0
	.set _Z17warp_store_kernelILj1024ELj4ELj1ELN7rocprim17ROCPRIM_304000_NS17warp_store_methodE0EdEvPT3_S4_.has_recursion, 0
	.set _Z17warp_store_kernelILj1024ELj4ELj1ELN7rocprim17ROCPRIM_304000_NS17warp_store_methodE0EdEvPT3_S4_.has_indirect_call, 0
	.section	.AMDGPU.csdata,"",@progbits
; Kernel info:
; codeLenInByte = 60
; TotalNumSgprs: 10
; NumVgprs: 9
; ScratchSize: 0
; MemoryBound: 1
; FloatMode: 240
; IeeeMode: 1
; LDSByteSize: 0 bytes/workgroup (compile time only)
; SGPRBlocks: 1
; VGPRBlocks: 2
; NumSGPRsForWavesPerEU: 10
; NumVGPRsForWavesPerEU: 9
; Occupancy: 10
; WaveLimiterHint : 1
; COMPUTE_PGM_RSRC2:SCRATCH_EN: 0
; COMPUTE_PGM_RSRC2:USER_SGPR: 6
; COMPUTE_PGM_RSRC2:TRAP_HANDLER: 0
; COMPUTE_PGM_RSRC2:TGID_X_EN: 1
; COMPUTE_PGM_RSRC2:TGID_Y_EN: 0
; COMPUTE_PGM_RSRC2:TGID_Z_EN: 0
; COMPUTE_PGM_RSRC2:TIDIG_COMP_CNT: 0
	.section	.text._Z17warp_store_kernelILj1024ELj4ELj1ELN7rocprim17ROCPRIM_304000_NS17warp_store_methodE3EfEvPT3_S4_,"axG",@progbits,_Z17warp_store_kernelILj1024ELj4ELj1ELN7rocprim17ROCPRIM_304000_NS17warp_store_methodE3EfEvPT3_S4_,comdat
	.protected	_Z17warp_store_kernelILj1024ELj4ELj1ELN7rocprim17ROCPRIM_304000_NS17warp_store_methodE3EfEvPT3_S4_ ; -- Begin function _Z17warp_store_kernelILj1024ELj4ELj1ELN7rocprim17ROCPRIM_304000_NS17warp_store_methodE3EfEvPT3_S4_
	.globl	_Z17warp_store_kernelILj1024ELj4ELj1ELN7rocprim17ROCPRIM_304000_NS17warp_store_methodE3EfEvPT3_S4_
	.p2align	8
	.type	_Z17warp_store_kernelILj1024ELj4ELj1ELN7rocprim17ROCPRIM_304000_NS17warp_store_methodE3EfEvPT3_S4_,@function
_Z17warp_store_kernelILj1024ELj4ELj1ELN7rocprim17ROCPRIM_304000_NS17warp_store_methodE3EfEvPT3_S4_: ; @_Z17warp_store_kernelILj1024ELj4ELj1ELN7rocprim17ROCPRIM_304000_NS17warp_store_methodE3EfEvPT3_S4_
; %bb.0:
	s_load_dwordx4 s[0:3], s[4:5], 0x0
	v_lshlrev_b32_e32 v4, 4, v0
	s_waitcnt lgkmcnt(0)
	global_load_dwordx4 v[0:3], v4, s[0:1]
	s_waitcnt vmcnt(0)
	ds_write_b128 v4, v[0:3]
	; wave barrier
	ds_read_b128 v[0:3], v4
	s_waitcnt lgkmcnt(0)
	global_store_dwordx4 v4, v[0:3], s[2:3]
	s_endpgm
	.section	.rodata,"a",@progbits
	.p2align	6, 0x0
	.amdhsa_kernel _Z17warp_store_kernelILj1024ELj4ELj1ELN7rocprim17ROCPRIM_304000_NS17warp_store_methodE3EfEvPT3_S4_
		.amdhsa_group_segment_fixed_size 16384
		.amdhsa_private_segment_fixed_size 0
		.amdhsa_kernarg_size 16
		.amdhsa_user_sgpr_count 6
		.amdhsa_user_sgpr_private_segment_buffer 1
		.amdhsa_user_sgpr_dispatch_ptr 0
		.amdhsa_user_sgpr_queue_ptr 0
		.amdhsa_user_sgpr_kernarg_segment_ptr 1
		.amdhsa_user_sgpr_dispatch_id 0
		.amdhsa_user_sgpr_flat_scratch_init 0
		.amdhsa_user_sgpr_private_segment_size 0
		.amdhsa_uses_dynamic_stack 0
		.amdhsa_system_sgpr_private_segment_wavefront_offset 0
		.amdhsa_system_sgpr_workgroup_id_x 1
		.amdhsa_system_sgpr_workgroup_id_y 0
		.amdhsa_system_sgpr_workgroup_id_z 0
		.amdhsa_system_sgpr_workgroup_info 0
		.amdhsa_system_vgpr_workitem_id 0
		.amdhsa_next_free_vgpr 29
		.amdhsa_next_free_sgpr 61
		.amdhsa_reserve_vcc 0
		.amdhsa_reserve_flat_scratch 0
		.amdhsa_float_round_mode_32 0
		.amdhsa_float_round_mode_16_64 0
		.amdhsa_float_denorm_mode_32 3
		.amdhsa_float_denorm_mode_16_64 3
		.amdhsa_dx10_clamp 1
		.amdhsa_ieee_mode 1
		.amdhsa_fp16_overflow 0
		.amdhsa_exception_fp_ieee_invalid_op 0
		.amdhsa_exception_fp_denorm_src 0
		.amdhsa_exception_fp_ieee_div_zero 0
		.amdhsa_exception_fp_ieee_overflow 0
		.amdhsa_exception_fp_ieee_underflow 0
		.amdhsa_exception_fp_ieee_inexact 0
		.amdhsa_exception_int_div_zero 0
	.end_amdhsa_kernel
	.section	.text._Z17warp_store_kernelILj1024ELj4ELj1ELN7rocprim17ROCPRIM_304000_NS17warp_store_methodE3EfEvPT3_S4_,"axG",@progbits,_Z17warp_store_kernelILj1024ELj4ELj1ELN7rocprim17ROCPRIM_304000_NS17warp_store_methodE3EfEvPT3_S4_,comdat
.Lfunc_end8:
	.size	_Z17warp_store_kernelILj1024ELj4ELj1ELN7rocprim17ROCPRIM_304000_NS17warp_store_methodE3EfEvPT3_S4_, .Lfunc_end8-_Z17warp_store_kernelILj1024ELj4ELj1ELN7rocprim17ROCPRIM_304000_NS17warp_store_methodE3EfEvPT3_S4_
                                        ; -- End function
	.set _Z17warp_store_kernelILj1024ELj4ELj1ELN7rocprim17ROCPRIM_304000_NS17warp_store_methodE3EfEvPT3_S4_.num_vgpr, 5
	.set _Z17warp_store_kernelILj1024ELj4ELj1ELN7rocprim17ROCPRIM_304000_NS17warp_store_methodE3EfEvPT3_S4_.num_agpr, 0
	.set _Z17warp_store_kernelILj1024ELj4ELj1ELN7rocprim17ROCPRIM_304000_NS17warp_store_methodE3EfEvPT3_S4_.numbered_sgpr, 6
	.set _Z17warp_store_kernelILj1024ELj4ELj1ELN7rocprim17ROCPRIM_304000_NS17warp_store_methodE3EfEvPT3_S4_.num_named_barrier, 0
	.set _Z17warp_store_kernelILj1024ELj4ELj1ELN7rocprim17ROCPRIM_304000_NS17warp_store_methodE3EfEvPT3_S4_.private_seg_size, 0
	.set _Z17warp_store_kernelILj1024ELj4ELj1ELN7rocprim17ROCPRIM_304000_NS17warp_store_methodE3EfEvPT3_S4_.uses_vcc, 0
	.set _Z17warp_store_kernelILj1024ELj4ELj1ELN7rocprim17ROCPRIM_304000_NS17warp_store_methodE3EfEvPT3_S4_.uses_flat_scratch, 0
	.set _Z17warp_store_kernelILj1024ELj4ELj1ELN7rocprim17ROCPRIM_304000_NS17warp_store_methodE3EfEvPT3_S4_.has_dyn_sized_stack, 0
	.set _Z17warp_store_kernelILj1024ELj4ELj1ELN7rocprim17ROCPRIM_304000_NS17warp_store_methodE3EfEvPT3_S4_.has_recursion, 0
	.set _Z17warp_store_kernelILj1024ELj4ELj1ELN7rocprim17ROCPRIM_304000_NS17warp_store_methodE3EfEvPT3_S4_.has_indirect_call, 0
	.section	.AMDGPU.csdata,"",@progbits
; Kernel info:
; codeLenInByte = 60
; TotalNumSgprs: 10
; NumVgprs: 5
; ScratchSize: 0
; MemoryBound: 0
; FloatMode: 240
; IeeeMode: 1
; LDSByteSize: 16384 bytes/workgroup (compile time only)
; SGPRBlocks: 8
; VGPRBlocks: 7
; NumSGPRsForWavesPerEU: 65
; NumVGPRsForWavesPerEU: 29
; Occupancy: 8
; WaveLimiterHint : 0
; COMPUTE_PGM_RSRC2:SCRATCH_EN: 0
; COMPUTE_PGM_RSRC2:USER_SGPR: 6
; COMPUTE_PGM_RSRC2:TRAP_HANDLER: 0
; COMPUTE_PGM_RSRC2:TGID_X_EN: 1
; COMPUTE_PGM_RSRC2:TGID_Y_EN: 0
; COMPUTE_PGM_RSRC2:TGID_Z_EN: 0
; COMPUTE_PGM_RSRC2:TIDIG_COMP_CNT: 0
	.section	.text._Z17warp_store_kernelILj1024ELj4ELj1ELN7rocprim17ROCPRIM_304000_NS17warp_store_methodE2EfEvPT3_S4_,"axG",@progbits,_Z17warp_store_kernelILj1024ELj4ELj1ELN7rocprim17ROCPRIM_304000_NS17warp_store_methodE2EfEvPT3_S4_,comdat
	.protected	_Z17warp_store_kernelILj1024ELj4ELj1ELN7rocprim17ROCPRIM_304000_NS17warp_store_methodE2EfEvPT3_S4_ ; -- Begin function _Z17warp_store_kernelILj1024ELj4ELj1ELN7rocprim17ROCPRIM_304000_NS17warp_store_methodE2EfEvPT3_S4_
	.globl	_Z17warp_store_kernelILj1024ELj4ELj1ELN7rocprim17ROCPRIM_304000_NS17warp_store_methodE2EfEvPT3_S4_
	.p2align	8
	.type	_Z17warp_store_kernelILj1024ELj4ELj1ELN7rocprim17ROCPRIM_304000_NS17warp_store_methodE2EfEvPT3_S4_,@function
_Z17warp_store_kernelILj1024ELj4ELj1ELN7rocprim17ROCPRIM_304000_NS17warp_store_methodE2EfEvPT3_S4_: ; @_Z17warp_store_kernelILj1024ELj4ELj1ELN7rocprim17ROCPRIM_304000_NS17warp_store_methodE2EfEvPT3_S4_
; %bb.0:
	s_load_dwordx4 s[0:3], s[4:5], 0x0
	v_lshlrev_b32_e32 v4, 4, v0
	s_waitcnt lgkmcnt(0)
	global_load_dwordx4 v[0:3], v4, s[0:1]
	s_waitcnt vmcnt(0)
	global_store_dwordx4 v4, v[0:3], s[2:3]
	s_endpgm
	.section	.rodata,"a",@progbits
	.p2align	6, 0x0
	.amdhsa_kernel _Z17warp_store_kernelILj1024ELj4ELj1ELN7rocprim17ROCPRIM_304000_NS17warp_store_methodE2EfEvPT3_S4_
		.amdhsa_group_segment_fixed_size 0
		.amdhsa_private_segment_fixed_size 0
		.amdhsa_kernarg_size 16
		.amdhsa_user_sgpr_count 6
		.amdhsa_user_sgpr_private_segment_buffer 1
		.amdhsa_user_sgpr_dispatch_ptr 0
		.amdhsa_user_sgpr_queue_ptr 0
		.amdhsa_user_sgpr_kernarg_segment_ptr 1
		.amdhsa_user_sgpr_dispatch_id 0
		.amdhsa_user_sgpr_flat_scratch_init 0
		.amdhsa_user_sgpr_private_segment_size 0
		.amdhsa_uses_dynamic_stack 0
		.amdhsa_system_sgpr_private_segment_wavefront_offset 0
		.amdhsa_system_sgpr_workgroup_id_x 1
		.amdhsa_system_sgpr_workgroup_id_y 0
		.amdhsa_system_sgpr_workgroup_id_z 0
		.amdhsa_system_sgpr_workgroup_info 0
		.amdhsa_system_vgpr_workitem_id 0
		.amdhsa_next_free_vgpr 5
		.amdhsa_next_free_sgpr 6
		.amdhsa_reserve_vcc 0
		.amdhsa_reserve_flat_scratch 0
		.amdhsa_float_round_mode_32 0
		.amdhsa_float_round_mode_16_64 0
		.amdhsa_float_denorm_mode_32 3
		.amdhsa_float_denorm_mode_16_64 3
		.amdhsa_dx10_clamp 1
		.amdhsa_ieee_mode 1
		.amdhsa_fp16_overflow 0
		.amdhsa_exception_fp_ieee_invalid_op 0
		.amdhsa_exception_fp_denorm_src 0
		.amdhsa_exception_fp_ieee_div_zero 0
		.amdhsa_exception_fp_ieee_overflow 0
		.amdhsa_exception_fp_ieee_underflow 0
		.amdhsa_exception_fp_ieee_inexact 0
		.amdhsa_exception_int_div_zero 0
	.end_amdhsa_kernel
	.section	.text._Z17warp_store_kernelILj1024ELj4ELj1ELN7rocprim17ROCPRIM_304000_NS17warp_store_methodE2EfEvPT3_S4_,"axG",@progbits,_Z17warp_store_kernelILj1024ELj4ELj1ELN7rocprim17ROCPRIM_304000_NS17warp_store_methodE2EfEvPT3_S4_,comdat
.Lfunc_end9:
	.size	_Z17warp_store_kernelILj1024ELj4ELj1ELN7rocprim17ROCPRIM_304000_NS17warp_store_methodE2EfEvPT3_S4_, .Lfunc_end9-_Z17warp_store_kernelILj1024ELj4ELj1ELN7rocprim17ROCPRIM_304000_NS17warp_store_methodE2EfEvPT3_S4_
                                        ; -- End function
	.set _Z17warp_store_kernelILj1024ELj4ELj1ELN7rocprim17ROCPRIM_304000_NS17warp_store_methodE2EfEvPT3_S4_.num_vgpr, 5
	.set _Z17warp_store_kernelILj1024ELj4ELj1ELN7rocprim17ROCPRIM_304000_NS17warp_store_methodE2EfEvPT3_S4_.num_agpr, 0
	.set _Z17warp_store_kernelILj1024ELj4ELj1ELN7rocprim17ROCPRIM_304000_NS17warp_store_methodE2EfEvPT3_S4_.numbered_sgpr, 6
	.set _Z17warp_store_kernelILj1024ELj4ELj1ELN7rocprim17ROCPRIM_304000_NS17warp_store_methodE2EfEvPT3_S4_.num_named_barrier, 0
	.set _Z17warp_store_kernelILj1024ELj4ELj1ELN7rocprim17ROCPRIM_304000_NS17warp_store_methodE2EfEvPT3_S4_.private_seg_size, 0
	.set _Z17warp_store_kernelILj1024ELj4ELj1ELN7rocprim17ROCPRIM_304000_NS17warp_store_methodE2EfEvPT3_S4_.uses_vcc, 0
	.set _Z17warp_store_kernelILj1024ELj4ELj1ELN7rocprim17ROCPRIM_304000_NS17warp_store_methodE2EfEvPT3_S4_.uses_flat_scratch, 0
	.set _Z17warp_store_kernelILj1024ELj4ELj1ELN7rocprim17ROCPRIM_304000_NS17warp_store_methodE2EfEvPT3_S4_.has_dyn_sized_stack, 0
	.set _Z17warp_store_kernelILj1024ELj4ELj1ELN7rocprim17ROCPRIM_304000_NS17warp_store_methodE2EfEvPT3_S4_.has_recursion, 0
	.set _Z17warp_store_kernelILj1024ELj4ELj1ELN7rocprim17ROCPRIM_304000_NS17warp_store_methodE2EfEvPT3_S4_.has_indirect_call, 0
	.section	.AMDGPU.csdata,"",@progbits
; Kernel info:
; codeLenInByte = 40
; TotalNumSgprs: 10
; NumVgprs: 5
; ScratchSize: 0
; MemoryBound: 0
; FloatMode: 240
; IeeeMode: 1
; LDSByteSize: 0 bytes/workgroup (compile time only)
; SGPRBlocks: 1
; VGPRBlocks: 1
; NumSGPRsForWavesPerEU: 10
; NumVGPRsForWavesPerEU: 5
; Occupancy: 10
; WaveLimiterHint : 0
; COMPUTE_PGM_RSRC2:SCRATCH_EN: 0
; COMPUTE_PGM_RSRC2:USER_SGPR: 6
; COMPUTE_PGM_RSRC2:TRAP_HANDLER: 0
; COMPUTE_PGM_RSRC2:TGID_X_EN: 1
; COMPUTE_PGM_RSRC2:TGID_Y_EN: 0
; COMPUTE_PGM_RSRC2:TGID_Z_EN: 0
; COMPUTE_PGM_RSRC2:TIDIG_COMP_CNT: 0
	.section	.text._Z17warp_store_kernelILj1024ELj4ELj1ELN7rocprim17ROCPRIM_304000_NS17warp_store_methodE1EfEvPT3_S4_,"axG",@progbits,_Z17warp_store_kernelILj1024ELj4ELj1ELN7rocprim17ROCPRIM_304000_NS17warp_store_methodE1EfEvPT3_S4_,comdat
	.protected	_Z17warp_store_kernelILj1024ELj4ELj1ELN7rocprim17ROCPRIM_304000_NS17warp_store_methodE1EfEvPT3_S4_ ; -- Begin function _Z17warp_store_kernelILj1024ELj4ELj1ELN7rocprim17ROCPRIM_304000_NS17warp_store_methodE1EfEvPT3_S4_
	.globl	_Z17warp_store_kernelILj1024ELj4ELj1ELN7rocprim17ROCPRIM_304000_NS17warp_store_methodE1EfEvPT3_S4_
	.p2align	8
	.type	_Z17warp_store_kernelILj1024ELj4ELj1ELN7rocprim17ROCPRIM_304000_NS17warp_store_methodE1EfEvPT3_S4_,@function
_Z17warp_store_kernelILj1024ELj4ELj1ELN7rocprim17ROCPRIM_304000_NS17warp_store_methodE1EfEvPT3_S4_: ; @_Z17warp_store_kernelILj1024ELj4ELj1ELN7rocprim17ROCPRIM_304000_NS17warp_store_methodE1EfEvPT3_S4_
; %bb.0:
	s_load_dwordx4 s[0:3], s[4:5], 0x0
	v_lshlrev_b32_e32 v4, 4, v0
	s_waitcnt lgkmcnt(0)
	global_load_dwordx4 v[0:3], v4, s[0:1]
	s_waitcnt vmcnt(0)
	global_store_dwordx4 v4, v[0:3], s[2:3]
	s_endpgm
	.section	.rodata,"a",@progbits
	.p2align	6, 0x0
	.amdhsa_kernel _Z17warp_store_kernelILj1024ELj4ELj1ELN7rocprim17ROCPRIM_304000_NS17warp_store_methodE1EfEvPT3_S4_
		.amdhsa_group_segment_fixed_size 0
		.amdhsa_private_segment_fixed_size 0
		.amdhsa_kernarg_size 16
		.amdhsa_user_sgpr_count 6
		.amdhsa_user_sgpr_private_segment_buffer 1
		.amdhsa_user_sgpr_dispatch_ptr 0
		.amdhsa_user_sgpr_queue_ptr 0
		.amdhsa_user_sgpr_kernarg_segment_ptr 1
		.amdhsa_user_sgpr_dispatch_id 0
		.amdhsa_user_sgpr_flat_scratch_init 0
		.amdhsa_user_sgpr_private_segment_size 0
		.amdhsa_uses_dynamic_stack 0
		.amdhsa_system_sgpr_private_segment_wavefront_offset 0
		.amdhsa_system_sgpr_workgroup_id_x 1
		.amdhsa_system_sgpr_workgroup_id_y 0
		.amdhsa_system_sgpr_workgroup_id_z 0
		.amdhsa_system_sgpr_workgroup_info 0
		.amdhsa_system_vgpr_workitem_id 0
		.amdhsa_next_free_vgpr 5
		.amdhsa_next_free_sgpr 6
		.amdhsa_reserve_vcc 0
		.amdhsa_reserve_flat_scratch 0
		.amdhsa_float_round_mode_32 0
		.amdhsa_float_round_mode_16_64 0
		.amdhsa_float_denorm_mode_32 3
		.amdhsa_float_denorm_mode_16_64 3
		.amdhsa_dx10_clamp 1
		.amdhsa_ieee_mode 1
		.amdhsa_fp16_overflow 0
		.amdhsa_exception_fp_ieee_invalid_op 0
		.amdhsa_exception_fp_denorm_src 0
		.amdhsa_exception_fp_ieee_div_zero 0
		.amdhsa_exception_fp_ieee_overflow 0
		.amdhsa_exception_fp_ieee_underflow 0
		.amdhsa_exception_fp_ieee_inexact 0
		.amdhsa_exception_int_div_zero 0
	.end_amdhsa_kernel
	.section	.text._Z17warp_store_kernelILj1024ELj4ELj1ELN7rocprim17ROCPRIM_304000_NS17warp_store_methodE1EfEvPT3_S4_,"axG",@progbits,_Z17warp_store_kernelILj1024ELj4ELj1ELN7rocprim17ROCPRIM_304000_NS17warp_store_methodE1EfEvPT3_S4_,comdat
.Lfunc_end10:
	.size	_Z17warp_store_kernelILj1024ELj4ELj1ELN7rocprim17ROCPRIM_304000_NS17warp_store_methodE1EfEvPT3_S4_, .Lfunc_end10-_Z17warp_store_kernelILj1024ELj4ELj1ELN7rocprim17ROCPRIM_304000_NS17warp_store_methodE1EfEvPT3_S4_
                                        ; -- End function
	.set _Z17warp_store_kernelILj1024ELj4ELj1ELN7rocprim17ROCPRIM_304000_NS17warp_store_methodE1EfEvPT3_S4_.num_vgpr, 5
	.set _Z17warp_store_kernelILj1024ELj4ELj1ELN7rocprim17ROCPRIM_304000_NS17warp_store_methodE1EfEvPT3_S4_.num_agpr, 0
	.set _Z17warp_store_kernelILj1024ELj4ELj1ELN7rocprim17ROCPRIM_304000_NS17warp_store_methodE1EfEvPT3_S4_.numbered_sgpr, 6
	.set _Z17warp_store_kernelILj1024ELj4ELj1ELN7rocprim17ROCPRIM_304000_NS17warp_store_methodE1EfEvPT3_S4_.num_named_barrier, 0
	.set _Z17warp_store_kernelILj1024ELj4ELj1ELN7rocprim17ROCPRIM_304000_NS17warp_store_methodE1EfEvPT3_S4_.private_seg_size, 0
	.set _Z17warp_store_kernelILj1024ELj4ELj1ELN7rocprim17ROCPRIM_304000_NS17warp_store_methodE1EfEvPT3_S4_.uses_vcc, 0
	.set _Z17warp_store_kernelILj1024ELj4ELj1ELN7rocprim17ROCPRIM_304000_NS17warp_store_methodE1EfEvPT3_S4_.uses_flat_scratch, 0
	.set _Z17warp_store_kernelILj1024ELj4ELj1ELN7rocprim17ROCPRIM_304000_NS17warp_store_methodE1EfEvPT3_S4_.has_dyn_sized_stack, 0
	.set _Z17warp_store_kernelILj1024ELj4ELj1ELN7rocprim17ROCPRIM_304000_NS17warp_store_methodE1EfEvPT3_S4_.has_recursion, 0
	.set _Z17warp_store_kernelILj1024ELj4ELj1ELN7rocprim17ROCPRIM_304000_NS17warp_store_methodE1EfEvPT3_S4_.has_indirect_call, 0
	.section	.AMDGPU.csdata,"",@progbits
; Kernel info:
; codeLenInByte = 40
; TotalNumSgprs: 10
; NumVgprs: 5
; ScratchSize: 0
; MemoryBound: 0
; FloatMode: 240
; IeeeMode: 1
; LDSByteSize: 0 bytes/workgroup (compile time only)
; SGPRBlocks: 1
; VGPRBlocks: 1
; NumSGPRsForWavesPerEU: 10
; NumVGPRsForWavesPerEU: 5
; Occupancy: 10
; WaveLimiterHint : 0
; COMPUTE_PGM_RSRC2:SCRATCH_EN: 0
; COMPUTE_PGM_RSRC2:USER_SGPR: 6
; COMPUTE_PGM_RSRC2:TRAP_HANDLER: 0
; COMPUTE_PGM_RSRC2:TGID_X_EN: 1
; COMPUTE_PGM_RSRC2:TGID_Y_EN: 0
; COMPUTE_PGM_RSRC2:TGID_Z_EN: 0
; COMPUTE_PGM_RSRC2:TIDIG_COMP_CNT: 0
	.section	.text._Z17warp_store_kernelILj1024ELj4ELj1ELN7rocprim17ROCPRIM_304000_NS17warp_store_methodE0EfEvPT3_S4_,"axG",@progbits,_Z17warp_store_kernelILj1024ELj4ELj1ELN7rocprim17ROCPRIM_304000_NS17warp_store_methodE0EfEvPT3_S4_,comdat
	.protected	_Z17warp_store_kernelILj1024ELj4ELj1ELN7rocprim17ROCPRIM_304000_NS17warp_store_methodE0EfEvPT3_S4_ ; -- Begin function _Z17warp_store_kernelILj1024ELj4ELj1ELN7rocprim17ROCPRIM_304000_NS17warp_store_methodE0EfEvPT3_S4_
	.globl	_Z17warp_store_kernelILj1024ELj4ELj1ELN7rocprim17ROCPRIM_304000_NS17warp_store_methodE0EfEvPT3_S4_
	.p2align	8
	.type	_Z17warp_store_kernelILj1024ELj4ELj1ELN7rocprim17ROCPRIM_304000_NS17warp_store_methodE0EfEvPT3_S4_,@function
_Z17warp_store_kernelILj1024ELj4ELj1ELN7rocprim17ROCPRIM_304000_NS17warp_store_methodE0EfEvPT3_S4_: ; @_Z17warp_store_kernelILj1024ELj4ELj1ELN7rocprim17ROCPRIM_304000_NS17warp_store_methodE0EfEvPT3_S4_
; %bb.0:
	s_load_dwordx4 s[0:3], s[4:5], 0x0
	v_lshlrev_b32_e32 v4, 4, v0
	s_waitcnt lgkmcnt(0)
	global_load_dwordx4 v[0:3], v4, s[0:1]
	s_waitcnt vmcnt(0)
	global_store_dwordx4 v4, v[0:3], s[2:3]
	s_endpgm
	.section	.rodata,"a",@progbits
	.p2align	6, 0x0
	.amdhsa_kernel _Z17warp_store_kernelILj1024ELj4ELj1ELN7rocprim17ROCPRIM_304000_NS17warp_store_methodE0EfEvPT3_S4_
		.amdhsa_group_segment_fixed_size 0
		.amdhsa_private_segment_fixed_size 0
		.amdhsa_kernarg_size 16
		.amdhsa_user_sgpr_count 6
		.amdhsa_user_sgpr_private_segment_buffer 1
		.amdhsa_user_sgpr_dispatch_ptr 0
		.amdhsa_user_sgpr_queue_ptr 0
		.amdhsa_user_sgpr_kernarg_segment_ptr 1
		.amdhsa_user_sgpr_dispatch_id 0
		.amdhsa_user_sgpr_flat_scratch_init 0
		.amdhsa_user_sgpr_private_segment_size 0
		.amdhsa_uses_dynamic_stack 0
		.amdhsa_system_sgpr_private_segment_wavefront_offset 0
		.amdhsa_system_sgpr_workgroup_id_x 1
		.amdhsa_system_sgpr_workgroup_id_y 0
		.amdhsa_system_sgpr_workgroup_id_z 0
		.amdhsa_system_sgpr_workgroup_info 0
		.amdhsa_system_vgpr_workitem_id 0
		.amdhsa_next_free_vgpr 5
		.amdhsa_next_free_sgpr 6
		.amdhsa_reserve_vcc 0
		.amdhsa_reserve_flat_scratch 0
		.amdhsa_float_round_mode_32 0
		.amdhsa_float_round_mode_16_64 0
		.amdhsa_float_denorm_mode_32 3
		.amdhsa_float_denorm_mode_16_64 3
		.amdhsa_dx10_clamp 1
		.amdhsa_ieee_mode 1
		.amdhsa_fp16_overflow 0
		.amdhsa_exception_fp_ieee_invalid_op 0
		.amdhsa_exception_fp_denorm_src 0
		.amdhsa_exception_fp_ieee_div_zero 0
		.amdhsa_exception_fp_ieee_overflow 0
		.amdhsa_exception_fp_ieee_underflow 0
		.amdhsa_exception_fp_ieee_inexact 0
		.amdhsa_exception_int_div_zero 0
	.end_amdhsa_kernel
	.section	.text._Z17warp_store_kernelILj1024ELj4ELj1ELN7rocprim17ROCPRIM_304000_NS17warp_store_methodE0EfEvPT3_S4_,"axG",@progbits,_Z17warp_store_kernelILj1024ELj4ELj1ELN7rocprim17ROCPRIM_304000_NS17warp_store_methodE0EfEvPT3_S4_,comdat
.Lfunc_end11:
	.size	_Z17warp_store_kernelILj1024ELj4ELj1ELN7rocprim17ROCPRIM_304000_NS17warp_store_methodE0EfEvPT3_S4_, .Lfunc_end11-_Z17warp_store_kernelILj1024ELj4ELj1ELN7rocprim17ROCPRIM_304000_NS17warp_store_methodE0EfEvPT3_S4_
                                        ; -- End function
	.set _Z17warp_store_kernelILj1024ELj4ELj1ELN7rocprim17ROCPRIM_304000_NS17warp_store_methodE0EfEvPT3_S4_.num_vgpr, 5
	.set _Z17warp_store_kernelILj1024ELj4ELj1ELN7rocprim17ROCPRIM_304000_NS17warp_store_methodE0EfEvPT3_S4_.num_agpr, 0
	.set _Z17warp_store_kernelILj1024ELj4ELj1ELN7rocprim17ROCPRIM_304000_NS17warp_store_methodE0EfEvPT3_S4_.numbered_sgpr, 6
	.set _Z17warp_store_kernelILj1024ELj4ELj1ELN7rocprim17ROCPRIM_304000_NS17warp_store_methodE0EfEvPT3_S4_.num_named_barrier, 0
	.set _Z17warp_store_kernelILj1024ELj4ELj1ELN7rocprim17ROCPRIM_304000_NS17warp_store_methodE0EfEvPT3_S4_.private_seg_size, 0
	.set _Z17warp_store_kernelILj1024ELj4ELj1ELN7rocprim17ROCPRIM_304000_NS17warp_store_methodE0EfEvPT3_S4_.uses_vcc, 0
	.set _Z17warp_store_kernelILj1024ELj4ELj1ELN7rocprim17ROCPRIM_304000_NS17warp_store_methodE0EfEvPT3_S4_.uses_flat_scratch, 0
	.set _Z17warp_store_kernelILj1024ELj4ELj1ELN7rocprim17ROCPRIM_304000_NS17warp_store_methodE0EfEvPT3_S4_.has_dyn_sized_stack, 0
	.set _Z17warp_store_kernelILj1024ELj4ELj1ELN7rocprim17ROCPRIM_304000_NS17warp_store_methodE0EfEvPT3_S4_.has_recursion, 0
	.set _Z17warp_store_kernelILj1024ELj4ELj1ELN7rocprim17ROCPRIM_304000_NS17warp_store_methodE0EfEvPT3_S4_.has_indirect_call, 0
	.section	.AMDGPU.csdata,"",@progbits
; Kernel info:
; codeLenInByte = 40
; TotalNumSgprs: 10
; NumVgprs: 5
; ScratchSize: 0
; MemoryBound: 0
; FloatMode: 240
; IeeeMode: 1
; LDSByteSize: 0 bytes/workgroup (compile time only)
; SGPRBlocks: 1
; VGPRBlocks: 1
; NumSGPRsForWavesPerEU: 10
; NumVGPRsForWavesPerEU: 5
; Occupancy: 10
; WaveLimiterHint : 0
; COMPUTE_PGM_RSRC2:SCRATCH_EN: 0
; COMPUTE_PGM_RSRC2:USER_SGPR: 6
; COMPUTE_PGM_RSRC2:TRAP_HANDLER: 0
; COMPUTE_PGM_RSRC2:TGID_X_EN: 1
; COMPUTE_PGM_RSRC2:TGID_Y_EN: 0
; COMPUTE_PGM_RSRC2:TGID_Z_EN: 0
; COMPUTE_PGM_RSRC2:TIDIG_COMP_CNT: 0
	.section	.text._Z17warp_store_kernelILj1024ELj4ELj1ELN7rocprim17ROCPRIM_304000_NS17warp_store_methodE3EhEvPT3_S4_,"axG",@progbits,_Z17warp_store_kernelILj1024ELj4ELj1ELN7rocprim17ROCPRIM_304000_NS17warp_store_methodE3EhEvPT3_S4_,comdat
	.protected	_Z17warp_store_kernelILj1024ELj4ELj1ELN7rocprim17ROCPRIM_304000_NS17warp_store_methodE3EhEvPT3_S4_ ; -- Begin function _Z17warp_store_kernelILj1024ELj4ELj1ELN7rocprim17ROCPRIM_304000_NS17warp_store_methodE3EhEvPT3_S4_
	.globl	_Z17warp_store_kernelILj1024ELj4ELj1ELN7rocprim17ROCPRIM_304000_NS17warp_store_methodE3EhEvPT3_S4_
	.p2align	8
	.type	_Z17warp_store_kernelILj1024ELj4ELj1ELN7rocprim17ROCPRIM_304000_NS17warp_store_methodE3EhEvPT3_S4_,@function
_Z17warp_store_kernelILj1024ELj4ELj1ELN7rocprim17ROCPRIM_304000_NS17warp_store_methodE3EhEvPT3_S4_: ; @_Z17warp_store_kernelILj1024ELj4ELj1ELN7rocprim17ROCPRIM_304000_NS17warp_store_methodE3EhEvPT3_S4_
; %bb.0:
	s_load_dwordx4 s[0:3], s[4:5], 0x0
	v_lshlrev_b32_e32 v0, 2, v0
	s_waitcnt lgkmcnt(0)
	global_load_dword v1, v0, s[0:1]
	s_waitcnt vmcnt(0)
	ds_write_b32 v0, v1
	; wave barrier
	ds_read_b32 v1, v0
	s_waitcnt lgkmcnt(0)
	global_store_dword v0, v1, s[2:3]
	s_endpgm
	.section	.rodata,"a",@progbits
	.p2align	6, 0x0
	.amdhsa_kernel _Z17warp_store_kernelILj1024ELj4ELj1ELN7rocprim17ROCPRIM_304000_NS17warp_store_methodE3EhEvPT3_S4_
		.amdhsa_group_segment_fixed_size 4096
		.amdhsa_private_segment_fixed_size 0
		.amdhsa_kernarg_size 16
		.amdhsa_user_sgpr_count 6
		.amdhsa_user_sgpr_private_segment_buffer 1
		.amdhsa_user_sgpr_dispatch_ptr 0
		.amdhsa_user_sgpr_queue_ptr 0
		.amdhsa_user_sgpr_kernarg_segment_ptr 1
		.amdhsa_user_sgpr_dispatch_id 0
		.amdhsa_user_sgpr_flat_scratch_init 0
		.amdhsa_user_sgpr_private_segment_size 0
		.amdhsa_uses_dynamic_stack 0
		.amdhsa_system_sgpr_private_segment_wavefront_offset 0
		.amdhsa_system_sgpr_workgroup_id_x 1
		.amdhsa_system_sgpr_workgroup_id_y 0
		.amdhsa_system_sgpr_workgroup_id_z 0
		.amdhsa_system_sgpr_workgroup_info 0
		.amdhsa_system_vgpr_workitem_id 0
		.amdhsa_next_free_vgpr 29
		.amdhsa_next_free_sgpr 61
		.amdhsa_reserve_vcc 0
		.amdhsa_reserve_flat_scratch 0
		.amdhsa_float_round_mode_32 0
		.amdhsa_float_round_mode_16_64 0
		.amdhsa_float_denorm_mode_32 3
		.amdhsa_float_denorm_mode_16_64 3
		.amdhsa_dx10_clamp 1
		.amdhsa_ieee_mode 1
		.amdhsa_fp16_overflow 0
		.amdhsa_exception_fp_ieee_invalid_op 0
		.amdhsa_exception_fp_denorm_src 0
		.amdhsa_exception_fp_ieee_div_zero 0
		.amdhsa_exception_fp_ieee_overflow 0
		.amdhsa_exception_fp_ieee_underflow 0
		.amdhsa_exception_fp_ieee_inexact 0
		.amdhsa_exception_int_div_zero 0
	.end_amdhsa_kernel
	.section	.text._Z17warp_store_kernelILj1024ELj4ELj1ELN7rocprim17ROCPRIM_304000_NS17warp_store_methodE3EhEvPT3_S4_,"axG",@progbits,_Z17warp_store_kernelILj1024ELj4ELj1ELN7rocprim17ROCPRIM_304000_NS17warp_store_methodE3EhEvPT3_S4_,comdat
.Lfunc_end12:
	.size	_Z17warp_store_kernelILj1024ELj4ELj1ELN7rocprim17ROCPRIM_304000_NS17warp_store_methodE3EhEvPT3_S4_, .Lfunc_end12-_Z17warp_store_kernelILj1024ELj4ELj1ELN7rocprim17ROCPRIM_304000_NS17warp_store_methodE3EhEvPT3_S4_
                                        ; -- End function
	.set _Z17warp_store_kernelILj1024ELj4ELj1ELN7rocprim17ROCPRIM_304000_NS17warp_store_methodE3EhEvPT3_S4_.num_vgpr, 2
	.set _Z17warp_store_kernelILj1024ELj4ELj1ELN7rocprim17ROCPRIM_304000_NS17warp_store_methodE3EhEvPT3_S4_.num_agpr, 0
	.set _Z17warp_store_kernelILj1024ELj4ELj1ELN7rocprim17ROCPRIM_304000_NS17warp_store_methodE3EhEvPT3_S4_.numbered_sgpr, 6
	.set _Z17warp_store_kernelILj1024ELj4ELj1ELN7rocprim17ROCPRIM_304000_NS17warp_store_methodE3EhEvPT3_S4_.num_named_barrier, 0
	.set _Z17warp_store_kernelILj1024ELj4ELj1ELN7rocprim17ROCPRIM_304000_NS17warp_store_methodE3EhEvPT3_S4_.private_seg_size, 0
	.set _Z17warp_store_kernelILj1024ELj4ELj1ELN7rocprim17ROCPRIM_304000_NS17warp_store_methodE3EhEvPT3_S4_.uses_vcc, 0
	.set _Z17warp_store_kernelILj1024ELj4ELj1ELN7rocprim17ROCPRIM_304000_NS17warp_store_methodE3EhEvPT3_S4_.uses_flat_scratch, 0
	.set _Z17warp_store_kernelILj1024ELj4ELj1ELN7rocprim17ROCPRIM_304000_NS17warp_store_methodE3EhEvPT3_S4_.has_dyn_sized_stack, 0
	.set _Z17warp_store_kernelILj1024ELj4ELj1ELN7rocprim17ROCPRIM_304000_NS17warp_store_methodE3EhEvPT3_S4_.has_recursion, 0
	.set _Z17warp_store_kernelILj1024ELj4ELj1ELN7rocprim17ROCPRIM_304000_NS17warp_store_methodE3EhEvPT3_S4_.has_indirect_call, 0
	.section	.AMDGPU.csdata,"",@progbits
; Kernel info:
; codeLenInByte = 60
; TotalNumSgprs: 10
; NumVgprs: 2
; ScratchSize: 0
; MemoryBound: 0
; FloatMode: 240
; IeeeMode: 1
; LDSByteSize: 4096 bytes/workgroup (compile time only)
; SGPRBlocks: 8
; VGPRBlocks: 7
; NumSGPRsForWavesPerEU: 65
; NumVGPRsForWavesPerEU: 29
; Occupancy: 8
; WaveLimiterHint : 0
; COMPUTE_PGM_RSRC2:SCRATCH_EN: 0
; COMPUTE_PGM_RSRC2:USER_SGPR: 6
; COMPUTE_PGM_RSRC2:TRAP_HANDLER: 0
; COMPUTE_PGM_RSRC2:TGID_X_EN: 1
; COMPUTE_PGM_RSRC2:TGID_Y_EN: 0
; COMPUTE_PGM_RSRC2:TGID_Z_EN: 0
; COMPUTE_PGM_RSRC2:TIDIG_COMP_CNT: 0
	.section	.text._Z17warp_store_kernelILj1024ELj4ELj1ELN7rocprim17ROCPRIM_304000_NS17warp_store_methodE2EhEvPT3_S4_,"axG",@progbits,_Z17warp_store_kernelILj1024ELj4ELj1ELN7rocprim17ROCPRIM_304000_NS17warp_store_methodE2EhEvPT3_S4_,comdat
	.protected	_Z17warp_store_kernelILj1024ELj4ELj1ELN7rocprim17ROCPRIM_304000_NS17warp_store_methodE2EhEvPT3_S4_ ; -- Begin function _Z17warp_store_kernelILj1024ELj4ELj1ELN7rocprim17ROCPRIM_304000_NS17warp_store_methodE2EhEvPT3_S4_
	.globl	_Z17warp_store_kernelILj1024ELj4ELj1ELN7rocprim17ROCPRIM_304000_NS17warp_store_methodE2EhEvPT3_S4_
	.p2align	8
	.type	_Z17warp_store_kernelILj1024ELj4ELj1ELN7rocprim17ROCPRIM_304000_NS17warp_store_methodE2EhEvPT3_S4_,@function
_Z17warp_store_kernelILj1024ELj4ELj1ELN7rocprim17ROCPRIM_304000_NS17warp_store_methodE2EhEvPT3_S4_: ; @_Z17warp_store_kernelILj1024ELj4ELj1ELN7rocprim17ROCPRIM_304000_NS17warp_store_methodE2EhEvPT3_S4_
; %bb.0:
	s_load_dwordx4 s[0:3], s[4:5], 0x0
	v_lshlrev_b32_e32 v0, 2, v0
	s_waitcnt lgkmcnt(0)
	global_load_dword v1, v0, s[0:1]
	s_waitcnt vmcnt(0)
	global_store_dword v0, v1, s[2:3]
	s_endpgm
	.section	.rodata,"a",@progbits
	.p2align	6, 0x0
	.amdhsa_kernel _Z17warp_store_kernelILj1024ELj4ELj1ELN7rocprim17ROCPRIM_304000_NS17warp_store_methodE2EhEvPT3_S4_
		.amdhsa_group_segment_fixed_size 0
		.amdhsa_private_segment_fixed_size 0
		.amdhsa_kernarg_size 16
		.amdhsa_user_sgpr_count 6
		.amdhsa_user_sgpr_private_segment_buffer 1
		.amdhsa_user_sgpr_dispatch_ptr 0
		.amdhsa_user_sgpr_queue_ptr 0
		.amdhsa_user_sgpr_kernarg_segment_ptr 1
		.amdhsa_user_sgpr_dispatch_id 0
		.amdhsa_user_sgpr_flat_scratch_init 0
		.amdhsa_user_sgpr_private_segment_size 0
		.amdhsa_uses_dynamic_stack 0
		.amdhsa_system_sgpr_private_segment_wavefront_offset 0
		.amdhsa_system_sgpr_workgroup_id_x 1
		.amdhsa_system_sgpr_workgroup_id_y 0
		.amdhsa_system_sgpr_workgroup_id_z 0
		.amdhsa_system_sgpr_workgroup_info 0
		.amdhsa_system_vgpr_workitem_id 0
		.amdhsa_next_free_vgpr 2
		.amdhsa_next_free_sgpr 6
		.amdhsa_reserve_vcc 0
		.amdhsa_reserve_flat_scratch 0
		.amdhsa_float_round_mode_32 0
		.amdhsa_float_round_mode_16_64 0
		.amdhsa_float_denorm_mode_32 3
		.amdhsa_float_denorm_mode_16_64 3
		.amdhsa_dx10_clamp 1
		.amdhsa_ieee_mode 1
		.amdhsa_fp16_overflow 0
		.amdhsa_exception_fp_ieee_invalid_op 0
		.amdhsa_exception_fp_denorm_src 0
		.amdhsa_exception_fp_ieee_div_zero 0
		.amdhsa_exception_fp_ieee_overflow 0
		.amdhsa_exception_fp_ieee_underflow 0
		.amdhsa_exception_fp_ieee_inexact 0
		.amdhsa_exception_int_div_zero 0
	.end_amdhsa_kernel
	.section	.text._Z17warp_store_kernelILj1024ELj4ELj1ELN7rocprim17ROCPRIM_304000_NS17warp_store_methodE2EhEvPT3_S4_,"axG",@progbits,_Z17warp_store_kernelILj1024ELj4ELj1ELN7rocprim17ROCPRIM_304000_NS17warp_store_methodE2EhEvPT3_S4_,comdat
.Lfunc_end13:
	.size	_Z17warp_store_kernelILj1024ELj4ELj1ELN7rocprim17ROCPRIM_304000_NS17warp_store_methodE2EhEvPT3_S4_, .Lfunc_end13-_Z17warp_store_kernelILj1024ELj4ELj1ELN7rocprim17ROCPRIM_304000_NS17warp_store_methodE2EhEvPT3_S4_
                                        ; -- End function
	.set _Z17warp_store_kernelILj1024ELj4ELj1ELN7rocprim17ROCPRIM_304000_NS17warp_store_methodE2EhEvPT3_S4_.num_vgpr, 2
	.set _Z17warp_store_kernelILj1024ELj4ELj1ELN7rocprim17ROCPRIM_304000_NS17warp_store_methodE2EhEvPT3_S4_.num_agpr, 0
	.set _Z17warp_store_kernelILj1024ELj4ELj1ELN7rocprim17ROCPRIM_304000_NS17warp_store_methodE2EhEvPT3_S4_.numbered_sgpr, 6
	.set _Z17warp_store_kernelILj1024ELj4ELj1ELN7rocprim17ROCPRIM_304000_NS17warp_store_methodE2EhEvPT3_S4_.num_named_barrier, 0
	.set _Z17warp_store_kernelILj1024ELj4ELj1ELN7rocprim17ROCPRIM_304000_NS17warp_store_methodE2EhEvPT3_S4_.private_seg_size, 0
	.set _Z17warp_store_kernelILj1024ELj4ELj1ELN7rocprim17ROCPRIM_304000_NS17warp_store_methodE2EhEvPT3_S4_.uses_vcc, 0
	.set _Z17warp_store_kernelILj1024ELj4ELj1ELN7rocprim17ROCPRIM_304000_NS17warp_store_methodE2EhEvPT3_S4_.uses_flat_scratch, 0
	.set _Z17warp_store_kernelILj1024ELj4ELj1ELN7rocprim17ROCPRIM_304000_NS17warp_store_methodE2EhEvPT3_S4_.has_dyn_sized_stack, 0
	.set _Z17warp_store_kernelILj1024ELj4ELj1ELN7rocprim17ROCPRIM_304000_NS17warp_store_methodE2EhEvPT3_S4_.has_recursion, 0
	.set _Z17warp_store_kernelILj1024ELj4ELj1ELN7rocprim17ROCPRIM_304000_NS17warp_store_methodE2EhEvPT3_S4_.has_indirect_call, 0
	.section	.AMDGPU.csdata,"",@progbits
; Kernel info:
; codeLenInByte = 40
; TotalNumSgprs: 10
; NumVgprs: 2
; ScratchSize: 0
; MemoryBound: 0
; FloatMode: 240
; IeeeMode: 1
; LDSByteSize: 0 bytes/workgroup (compile time only)
; SGPRBlocks: 1
; VGPRBlocks: 0
; NumSGPRsForWavesPerEU: 10
; NumVGPRsForWavesPerEU: 2
; Occupancy: 10
; WaveLimiterHint : 0
; COMPUTE_PGM_RSRC2:SCRATCH_EN: 0
; COMPUTE_PGM_RSRC2:USER_SGPR: 6
; COMPUTE_PGM_RSRC2:TRAP_HANDLER: 0
; COMPUTE_PGM_RSRC2:TGID_X_EN: 1
; COMPUTE_PGM_RSRC2:TGID_Y_EN: 0
; COMPUTE_PGM_RSRC2:TGID_Z_EN: 0
; COMPUTE_PGM_RSRC2:TIDIG_COMP_CNT: 0
	.section	.text._Z17warp_store_kernelILj1024ELj4ELj1ELN7rocprim17ROCPRIM_304000_NS17warp_store_methodE1EhEvPT3_S4_,"axG",@progbits,_Z17warp_store_kernelILj1024ELj4ELj1ELN7rocprim17ROCPRIM_304000_NS17warp_store_methodE1EhEvPT3_S4_,comdat
	.protected	_Z17warp_store_kernelILj1024ELj4ELj1ELN7rocprim17ROCPRIM_304000_NS17warp_store_methodE1EhEvPT3_S4_ ; -- Begin function _Z17warp_store_kernelILj1024ELj4ELj1ELN7rocprim17ROCPRIM_304000_NS17warp_store_methodE1EhEvPT3_S4_
	.globl	_Z17warp_store_kernelILj1024ELj4ELj1ELN7rocprim17ROCPRIM_304000_NS17warp_store_methodE1EhEvPT3_S4_
	.p2align	8
	.type	_Z17warp_store_kernelILj1024ELj4ELj1ELN7rocprim17ROCPRIM_304000_NS17warp_store_methodE1EhEvPT3_S4_,@function
_Z17warp_store_kernelILj1024ELj4ELj1ELN7rocprim17ROCPRIM_304000_NS17warp_store_methodE1EhEvPT3_S4_: ; @_Z17warp_store_kernelILj1024ELj4ELj1ELN7rocprim17ROCPRIM_304000_NS17warp_store_methodE1EhEvPT3_S4_
; %bb.0:
	s_load_dwordx4 s[0:3], s[4:5], 0x0
	v_lshlrev_b32_e32 v0, 2, v0
	s_waitcnt lgkmcnt(0)
	global_load_dword v1, v0, s[0:1]
	s_waitcnt vmcnt(0)
	global_store_dword v0, v1, s[2:3]
	s_endpgm
	.section	.rodata,"a",@progbits
	.p2align	6, 0x0
	.amdhsa_kernel _Z17warp_store_kernelILj1024ELj4ELj1ELN7rocprim17ROCPRIM_304000_NS17warp_store_methodE1EhEvPT3_S4_
		.amdhsa_group_segment_fixed_size 0
		.amdhsa_private_segment_fixed_size 0
		.amdhsa_kernarg_size 16
		.amdhsa_user_sgpr_count 6
		.amdhsa_user_sgpr_private_segment_buffer 1
		.amdhsa_user_sgpr_dispatch_ptr 0
		.amdhsa_user_sgpr_queue_ptr 0
		.amdhsa_user_sgpr_kernarg_segment_ptr 1
		.amdhsa_user_sgpr_dispatch_id 0
		.amdhsa_user_sgpr_flat_scratch_init 0
		.amdhsa_user_sgpr_private_segment_size 0
		.amdhsa_uses_dynamic_stack 0
		.amdhsa_system_sgpr_private_segment_wavefront_offset 0
		.amdhsa_system_sgpr_workgroup_id_x 1
		.amdhsa_system_sgpr_workgroup_id_y 0
		.amdhsa_system_sgpr_workgroup_id_z 0
		.amdhsa_system_sgpr_workgroup_info 0
		.amdhsa_system_vgpr_workitem_id 0
		.amdhsa_next_free_vgpr 2
		.amdhsa_next_free_sgpr 6
		.amdhsa_reserve_vcc 0
		.amdhsa_reserve_flat_scratch 0
		.amdhsa_float_round_mode_32 0
		.amdhsa_float_round_mode_16_64 0
		.amdhsa_float_denorm_mode_32 3
		.amdhsa_float_denorm_mode_16_64 3
		.amdhsa_dx10_clamp 1
		.amdhsa_ieee_mode 1
		.amdhsa_fp16_overflow 0
		.amdhsa_exception_fp_ieee_invalid_op 0
		.amdhsa_exception_fp_denorm_src 0
		.amdhsa_exception_fp_ieee_div_zero 0
		.amdhsa_exception_fp_ieee_overflow 0
		.amdhsa_exception_fp_ieee_underflow 0
		.amdhsa_exception_fp_ieee_inexact 0
		.amdhsa_exception_int_div_zero 0
	.end_amdhsa_kernel
	.section	.text._Z17warp_store_kernelILj1024ELj4ELj1ELN7rocprim17ROCPRIM_304000_NS17warp_store_methodE1EhEvPT3_S4_,"axG",@progbits,_Z17warp_store_kernelILj1024ELj4ELj1ELN7rocprim17ROCPRIM_304000_NS17warp_store_methodE1EhEvPT3_S4_,comdat
.Lfunc_end14:
	.size	_Z17warp_store_kernelILj1024ELj4ELj1ELN7rocprim17ROCPRIM_304000_NS17warp_store_methodE1EhEvPT3_S4_, .Lfunc_end14-_Z17warp_store_kernelILj1024ELj4ELj1ELN7rocprim17ROCPRIM_304000_NS17warp_store_methodE1EhEvPT3_S4_
                                        ; -- End function
	.set _Z17warp_store_kernelILj1024ELj4ELj1ELN7rocprim17ROCPRIM_304000_NS17warp_store_methodE1EhEvPT3_S4_.num_vgpr, 2
	.set _Z17warp_store_kernelILj1024ELj4ELj1ELN7rocprim17ROCPRIM_304000_NS17warp_store_methodE1EhEvPT3_S4_.num_agpr, 0
	.set _Z17warp_store_kernelILj1024ELj4ELj1ELN7rocprim17ROCPRIM_304000_NS17warp_store_methodE1EhEvPT3_S4_.numbered_sgpr, 6
	.set _Z17warp_store_kernelILj1024ELj4ELj1ELN7rocprim17ROCPRIM_304000_NS17warp_store_methodE1EhEvPT3_S4_.num_named_barrier, 0
	.set _Z17warp_store_kernelILj1024ELj4ELj1ELN7rocprim17ROCPRIM_304000_NS17warp_store_methodE1EhEvPT3_S4_.private_seg_size, 0
	.set _Z17warp_store_kernelILj1024ELj4ELj1ELN7rocprim17ROCPRIM_304000_NS17warp_store_methodE1EhEvPT3_S4_.uses_vcc, 0
	.set _Z17warp_store_kernelILj1024ELj4ELj1ELN7rocprim17ROCPRIM_304000_NS17warp_store_methodE1EhEvPT3_S4_.uses_flat_scratch, 0
	.set _Z17warp_store_kernelILj1024ELj4ELj1ELN7rocprim17ROCPRIM_304000_NS17warp_store_methodE1EhEvPT3_S4_.has_dyn_sized_stack, 0
	.set _Z17warp_store_kernelILj1024ELj4ELj1ELN7rocprim17ROCPRIM_304000_NS17warp_store_methodE1EhEvPT3_S4_.has_recursion, 0
	.set _Z17warp_store_kernelILj1024ELj4ELj1ELN7rocprim17ROCPRIM_304000_NS17warp_store_methodE1EhEvPT3_S4_.has_indirect_call, 0
	.section	.AMDGPU.csdata,"",@progbits
; Kernel info:
; codeLenInByte = 40
; TotalNumSgprs: 10
; NumVgprs: 2
; ScratchSize: 0
; MemoryBound: 0
; FloatMode: 240
; IeeeMode: 1
; LDSByteSize: 0 bytes/workgroup (compile time only)
; SGPRBlocks: 1
; VGPRBlocks: 0
; NumSGPRsForWavesPerEU: 10
; NumVGPRsForWavesPerEU: 2
; Occupancy: 10
; WaveLimiterHint : 0
; COMPUTE_PGM_RSRC2:SCRATCH_EN: 0
; COMPUTE_PGM_RSRC2:USER_SGPR: 6
; COMPUTE_PGM_RSRC2:TRAP_HANDLER: 0
; COMPUTE_PGM_RSRC2:TGID_X_EN: 1
; COMPUTE_PGM_RSRC2:TGID_Y_EN: 0
; COMPUTE_PGM_RSRC2:TGID_Z_EN: 0
; COMPUTE_PGM_RSRC2:TIDIG_COMP_CNT: 0
	.section	.text._Z17warp_store_kernelILj1024ELj4ELj1ELN7rocprim17ROCPRIM_304000_NS17warp_store_methodE0EhEvPT3_S4_,"axG",@progbits,_Z17warp_store_kernelILj1024ELj4ELj1ELN7rocprim17ROCPRIM_304000_NS17warp_store_methodE0EhEvPT3_S4_,comdat
	.protected	_Z17warp_store_kernelILj1024ELj4ELj1ELN7rocprim17ROCPRIM_304000_NS17warp_store_methodE0EhEvPT3_S4_ ; -- Begin function _Z17warp_store_kernelILj1024ELj4ELj1ELN7rocprim17ROCPRIM_304000_NS17warp_store_methodE0EhEvPT3_S4_
	.globl	_Z17warp_store_kernelILj1024ELj4ELj1ELN7rocprim17ROCPRIM_304000_NS17warp_store_methodE0EhEvPT3_S4_
	.p2align	8
	.type	_Z17warp_store_kernelILj1024ELj4ELj1ELN7rocprim17ROCPRIM_304000_NS17warp_store_methodE0EhEvPT3_S4_,@function
_Z17warp_store_kernelILj1024ELj4ELj1ELN7rocprim17ROCPRIM_304000_NS17warp_store_methodE0EhEvPT3_S4_: ; @_Z17warp_store_kernelILj1024ELj4ELj1ELN7rocprim17ROCPRIM_304000_NS17warp_store_methodE0EhEvPT3_S4_
; %bb.0:
	s_load_dwordx4 s[0:3], s[4:5], 0x0
	v_lshlrev_b32_e32 v0, 2, v0
	s_waitcnt lgkmcnt(0)
	global_load_dword v1, v0, s[0:1]
	s_waitcnt vmcnt(0)
	global_store_dword v0, v1, s[2:3]
	s_endpgm
	.section	.rodata,"a",@progbits
	.p2align	6, 0x0
	.amdhsa_kernel _Z17warp_store_kernelILj1024ELj4ELj1ELN7rocprim17ROCPRIM_304000_NS17warp_store_methodE0EhEvPT3_S4_
		.amdhsa_group_segment_fixed_size 0
		.amdhsa_private_segment_fixed_size 0
		.amdhsa_kernarg_size 16
		.amdhsa_user_sgpr_count 6
		.amdhsa_user_sgpr_private_segment_buffer 1
		.amdhsa_user_sgpr_dispatch_ptr 0
		.amdhsa_user_sgpr_queue_ptr 0
		.amdhsa_user_sgpr_kernarg_segment_ptr 1
		.amdhsa_user_sgpr_dispatch_id 0
		.amdhsa_user_sgpr_flat_scratch_init 0
		.amdhsa_user_sgpr_private_segment_size 0
		.amdhsa_uses_dynamic_stack 0
		.amdhsa_system_sgpr_private_segment_wavefront_offset 0
		.amdhsa_system_sgpr_workgroup_id_x 1
		.amdhsa_system_sgpr_workgroup_id_y 0
		.amdhsa_system_sgpr_workgroup_id_z 0
		.amdhsa_system_sgpr_workgroup_info 0
		.amdhsa_system_vgpr_workitem_id 0
		.amdhsa_next_free_vgpr 2
		.amdhsa_next_free_sgpr 6
		.amdhsa_reserve_vcc 0
		.amdhsa_reserve_flat_scratch 0
		.amdhsa_float_round_mode_32 0
		.amdhsa_float_round_mode_16_64 0
		.amdhsa_float_denorm_mode_32 3
		.amdhsa_float_denorm_mode_16_64 3
		.amdhsa_dx10_clamp 1
		.amdhsa_ieee_mode 1
		.amdhsa_fp16_overflow 0
		.amdhsa_exception_fp_ieee_invalid_op 0
		.amdhsa_exception_fp_denorm_src 0
		.amdhsa_exception_fp_ieee_div_zero 0
		.amdhsa_exception_fp_ieee_overflow 0
		.amdhsa_exception_fp_ieee_underflow 0
		.amdhsa_exception_fp_ieee_inexact 0
		.amdhsa_exception_int_div_zero 0
	.end_amdhsa_kernel
	.section	.text._Z17warp_store_kernelILj1024ELj4ELj1ELN7rocprim17ROCPRIM_304000_NS17warp_store_methodE0EhEvPT3_S4_,"axG",@progbits,_Z17warp_store_kernelILj1024ELj4ELj1ELN7rocprim17ROCPRIM_304000_NS17warp_store_methodE0EhEvPT3_S4_,comdat
.Lfunc_end15:
	.size	_Z17warp_store_kernelILj1024ELj4ELj1ELN7rocprim17ROCPRIM_304000_NS17warp_store_methodE0EhEvPT3_S4_, .Lfunc_end15-_Z17warp_store_kernelILj1024ELj4ELj1ELN7rocprim17ROCPRIM_304000_NS17warp_store_methodE0EhEvPT3_S4_
                                        ; -- End function
	.set _Z17warp_store_kernelILj1024ELj4ELj1ELN7rocprim17ROCPRIM_304000_NS17warp_store_methodE0EhEvPT3_S4_.num_vgpr, 2
	.set _Z17warp_store_kernelILj1024ELj4ELj1ELN7rocprim17ROCPRIM_304000_NS17warp_store_methodE0EhEvPT3_S4_.num_agpr, 0
	.set _Z17warp_store_kernelILj1024ELj4ELj1ELN7rocprim17ROCPRIM_304000_NS17warp_store_methodE0EhEvPT3_S4_.numbered_sgpr, 6
	.set _Z17warp_store_kernelILj1024ELj4ELj1ELN7rocprim17ROCPRIM_304000_NS17warp_store_methodE0EhEvPT3_S4_.num_named_barrier, 0
	.set _Z17warp_store_kernelILj1024ELj4ELj1ELN7rocprim17ROCPRIM_304000_NS17warp_store_methodE0EhEvPT3_S4_.private_seg_size, 0
	.set _Z17warp_store_kernelILj1024ELj4ELj1ELN7rocprim17ROCPRIM_304000_NS17warp_store_methodE0EhEvPT3_S4_.uses_vcc, 0
	.set _Z17warp_store_kernelILj1024ELj4ELj1ELN7rocprim17ROCPRIM_304000_NS17warp_store_methodE0EhEvPT3_S4_.uses_flat_scratch, 0
	.set _Z17warp_store_kernelILj1024ELj4ELj1ELN7rocprim17ROCPRIM_304000_NS17warp_store_methodE0EhEvPT3_S4_.has_dyn_sized_stack, 0
	.set _Z17warp_store_kernelILj1024ELj4ELj1ELN7rocprim17ROCPRIM_304000_NS17warp_store_methodE0EhEvPT3_S4_.has_recursion, 0
	.set _Z17warp_store_kernelILj1024ELj4ELj1ELN7rocprim17ROCPRIM_304000_NS17warp_store_methodE0EhEvPT3_S4_.has_indirect_call, 0
	.section	.AMDGPU.csdata,"",@progbits
; Kernel info:
; codeLenInByte = 40
; TotalNumSgprs: 10
; NumVgprs: 2
; ScratchSize: 0
; MemoryBound: 0
; FloatMode: 240
; IeeeMode: 1
; LDSByteSize: 0 bytes/workgroup (compile time only)
; SGPRBlocks: 1
; VGPRBlocks: 0
; NumSGPRsForWavesPerEU: 10
; NumVGPRsForWavesPerEU: 2
; Occupancy: 10
; WaveLimiterHint : 0
; COMPUTE_PGM_RSRC2:SCRATCH_EN: 0
; COMPUTE_PGM_RSRC2:USER_SGPR: 6
; COMPUTE_PGM_RSRC2:TRAP_HANDLER: 0
; COMPUTE_PGM_RSRC2:TGID_X_EN: 1
; COMPUTE_PGM_RSRC2:TGID_Y_EN: 0
; COMPUTE_PGM_RSRC2:TGID_Z_EN: 0
; COMPUTE_PGM_RSRC2:TIDIG_COMP_CNT: 0
	.section	.text._Z17warp_store_kernelILj1024ELj4ELj1ELN7rocprim17ROCPRIM_304000_NS17warp_store_methodE3EaEvPT3_S4_,"axG",@progbits,_Z17warp_store_kernelILj1024ELj4ELj1ELN7rocprim17ROCPRIM_304000_NS17warp_store_methodE3EaEvPT3_S4_,comdat
	.protected	_Z17warp_store_kernelILj1024ELj4ELj1ELN7rocprim17ROCPRIM_304000_NS17warp_store_methodE3EaEvPT3_S4_ ; -- Begin function _Z17warp_store_kernelILj1024ELj4ELj1ELN7rocprim17ROCPRIM_304000_NS17warp_store_methodE3EaEvPT3_S4_
	.globl	_Z17warp_store_kernelILj1024ELj4ELj1ELN7rocprim17ROCPRIM_304000_NS17warp_store_methodE3EaEvPT3_S4_
	.p2align	8
	.type	_Z17warp_store_kernelILj1024ELj4ELj1ELN7rocprim17ROCPRIM_304000_NS17warp_store_methodE3EaEvPT3_S4_,@function
_Z17warp_store_kernelILj1024ELj4ELj1ELN7rocprim17ROCPRIM_304000_NS17warp_store_methodE3EaEvPT3_S4_: ; @_Z17warp_store_kernelILj1024ELj4ELj1ELN7rocprim17ROCPRIM_304000_NS17warp_store_methodE3EaEvPT3_S4_
; %bb.0:
	s_load_dwordx4 s[0:3], s[4:5], 0x0
	v_lshlrev_b32_e32 v0, 2, v0
	s_waitcnt lgkmcnt(0)
	global_load_dword v1, v0, s[0:1]
	s_waitcnt vmcnt(0)
	ds_write_b32 v0, v1
	; wave barrier
	ds_read_b32 v1, v0
	s_waitcnt lgkmcnt(0)
	global_store_dword v0, v1, s[2:3]
	s_endpgm
	.section	.rodata,"a",@progbits
	.p2align	6, 0x0
	.amdhsa_kernel _Z17warp_store_kernelILj1024ELj4ELj1ELN7rocprim17ROCPRIM_304000_NS17warp_store_methodE3EaEvPT3_S4_
		.amdhsa_group_segment_fixed_size 4096
		.amdhsa_private_segment_fixed_size 0
		.amdhsa_kernarg_size 16
		.amdhsa_user_sgpr_count 6
		.amdhsa_user_sgpr_private_segment_buffer 1
		.amdhsa_user_sgpr_dispatch_ptr 0
		.amdhsa_user_sgpr_queue_ptr 0
		.amdhsa_user_sgpr_kernarg_segment_ptr 1
		.amdhsa_user_sgpr_dispatch_id 0
		.amdhsa_user_sgpr_flat_scratch_init 0
		.amdhsa_user_sgpr_private_segment_size 0
		.amdhsa_uses_dynamic_stack 0
		.amdhsa_system_sgpr_private_segment_wavefront_offset 0
		.amdhsa_system_sgpr_workgroup_id_x 1
		.amdhsa_system_sgpr_workgroup_id_y 0
		.amdhsa_system_sgpr_workgroup_id_z 0
		.amdhsa_system_sgpr_workgroup_info 0
		.amdhsa_system_vgpr_workitem_id 0
		.amdhsa_next_free_vgpr 29
		.amdhsa_next_free_sgpr 61
		.amdhsa_reserve_vcc 0
		.amdhsa_reserve_flat_scratch 0
		.amdhsa_float_round_mode_32 0
		.amdhsa_float_round_mode_16_64 0
		.amdhsa_float_denorm_mode_32 3
		.amdhsa_float_denorm_mode_16_64 3
		.amdhsa_dx10_clamp 1
		.amdhsa_ieee_mode 1
		.amdhsa_fp16_overflow 0
		.amdhsa_exception_fp_ieee_invalid_op 0
		.amdhsa_exception_fp_denorm_src 0
		.amdhsa_exception_fp_ieee_div_zero 0
		.amdhsa_exception_fp_ieee_overflow 0
		.amdhsa_exception_fp_ieee_underflow 0
		.amdhsa_exception_fp_ieee_inexact 0
		.amdhsa_exception_int_div_zero 0
	.end_amdhsa_kernel
	.section	.text._Z17warp_store_kernelILj1024ELj4ELj1ELN7rocprim17ROCPRIM_304000_NS17warp_store_methodE3EaEvPT3_S4_,"axG",@progbits,_Z17warp_store_kernelILj1024ELj4ELj1ELN7rocprim17ROCPRIM_304000_NS17warp_store_methodE3EaEvPT3_S4_,comdat
.Lfunc_end16:
	.size	_Z17warp_store_kernelILj1024ELj4ELj1ELN7rocprim17ROCPRIM_304000_NS17warp_store_methodE3EaEvPT3_S4_, .Lfunc_end16-_Z17warp_store_kernelILj1024ELj4ELj1ELN7rocprim17ROCPRIM_304000_NS17warp_store_methodE3EaEvPT3_S4_
                                        ; -- End function
	.set _Z17warp_store_kernelILj1024ELj4ELj1ELN7rocprim17ROCPRIM_304000_NS17warp_store_methodE3EaEvPT3_S4_.num_vgpr, 2
	.set _Z17warp_store_kernelILj1024ELj4ELj1ELN7rocprim17ROCPRIM_304000_NS17warp_store_methodE3EaEvPT3_S4_.num_agpr, 0
	.set _Z17warp_store_kernelILj1024ELj4ELj1ELN7rocprim17ROCPRIM_304000_NS17warp_store_methodE3EaEvPT3_S4_.numbered_sgpr, 6
	.set _Z17warp_store_kernelILj1024ELj4ELj1ELN7rocprim17ROCPRIM_304000_NS17warp_store_methodE3EaEvPT3_S4_.num_named_barrier, 0
	.set _Z17warp_store_kernelILj1024ELj4ELj1ELN7rocprim17ROCPRIM_304000_NS17warp_store_methodE3EaEvPT3_S4_.private_seg_size, 0
	.set _Z17warp_store_kernelILj1024ELj4ELj1ELN7rocprim17ROCPRIM_304000_NS17warp_store_methodE3EaEvPT3_S4_.uses_vcc, 0
	.set _Z17warp_store_kernelILj1024ELj4ELj1ELN7rocprim17ROCPRIM_304000_NS17warp_store_methodE3EaEvPT3_S4_.uses_flat_scratch, 0
	.set _Z17warp_store_kernelILj1024ELj4ELj1ELN7rocprim17ROCPRIM_304000_NS17warp_store_methodE3EaEvPT3_S4_.has_dyn_sized_stack, 0
	.set _Z17warp_store_kernelILj1024ELj4ELj1ELN7rocprim17ROCPRIM_304000_NS17warp_store_methodE3EaEvPT3_S4_.has_recursion, 0
	.set _Z17warp_store_kernelILj1024ELj4ELj1ELN7rocprim17ROCPRIM_304000_NS17warp_store_methodE3EaEvPT3_S4_.has_indirect_call, 0
	.section	.AMDGPU.csdata,"",@progbits
; Kernel info:
; codeLenInByte = 60
; TotalNumSgprs: 10
; NumVgprs: 2
; ScratchSize: 0
; MemoryBound: 0
; FloatMode: 240
; IeeeMode: 1
; LDSByteSize: 4096 bytes/workgroup (compile time only)
; SGPRBlocks: 8
; VGPRBlocks: 7
; NumSGPRsForWavesPerEU: 65
; NumVGPRsForWavesPerEU: 29
; Occupancy: 8
; WaveLimiterHint : 0
; COMPUTE_PGM_RSRC2:SCRATCH_EN: 0
; COMPUTE_PGM_RSRC2:USER_SGPR: 6
; COMPUTE_PGM_RSRC2:TRAP_HANDLER: 0
; COMPUTE_PGM_RSRC2:TGID_X_EN: 1
; COMPUTE_PGM_RSRC2:TGID_Y_EN: 0
; COMPUTE_PGM_RSRC2:TGID_Z_EN: 0
; COMPUTE_PGM_RSRC2:TIDIG_COMP_CNT: 0
	.section	.text._Z17warp_store_kernelILj1024ELj4ELj1ELN7rocprim17ROCPRIM_304000_NS17warp_store_methodE2EaEvPT3_S4_,"axG",@progbits,_Z17warp_store_kernelILj1024ELj4ELj1ELN7rocprim17ROCPRIM_304000_NS17warp_store_methodE2EaEvPT3_S4_,comdat
	.protected	_Z17warp_store_kernelILj1024ELj4ELj1ELN7rocprim17ROCPRIM_304000_NS17warp_store_methodE2EaEvPT3_S4_ ; -- Begin function _Z17warp_store_kernelILj1024ELj4ELj1ELN7rocprim17ROCPRIM_304000_NS17warp_store_methodE2EaEvPT3_S4_
	.globl	_Z17warp_store_kernelILj1024ELj4ELj1ELN7rocprim17ROCPRIM_304000_NS17warp_store_methodE2EaEvPT3_S4_
	.p2align	8
	.type	_Z17warp_store_kernelILj1024ELj4ELj1ELN7rocprim17ROCPRIM_304000_NS17warp_store_methodE2EaEvPT3_S4_,@function
_Z17warp_store_kernelILj1024ELj4ELj1ELN7rocprim17ROCPRIM_304000_NS17warp_store_methodE2EaEvPT3_S4_: ; @_Z17warp_store_kernelILj1024ELj4ELj1ELN7rocprim17ROCPRIM_304000_NS17warp_store_methodE2EaEvPT3_S4_
; %bb.0:
	s_load_dwordx4 s[0:3], s[4:5], 0x0
	v_lshlrev_b32_e32 v0, 2, v0
	s_waitcnt lgkmcnt(0)
	global_load_dword v1, v0, s[0:1]
	s_waitcnt vmcnt(0)
	global_store_dword v0, v1, s[2:3]
	s_endpgm
	.section	.rodata,"a",@progbits
	.p2align	6, 0x0
	.amdhsa_kernel _Z17warp_store_kernelILj1024ELj4ELj1ELN7rocprim17ROCPRIM_304000_NS17warp_store_methodE2EaEvPT3_S4_
		.amdhsa_group_segment_fixed_size 0
		.amdhsa_private_segment_fixed_size 0
		.amdhsa_kernarg_size 16
		.amdhsa_user_sgpr_count 6
		.amdhsa_user_sgpr_private_segment_buffer 1
		.amdhsa_user_sgpr_dispatch_ptr 0
		.amdhsa_user_sgpr_queue_ptr 0
		.amdhsa_user_sgpr_kernarg_segment_ptr 1
		.amdhsa_user_sgpr_dispatch_id 0
		.amdhsa_user_sgpr_flat_scratch_init 0
		.amdhsa_user_sgpr_private_segment_size 0
		.amdhsa_uses_dynamic_stack 0
		.amdhsa_system_sgpr_private_segment_wavefront_offset 0
		.amdhsa_system_sgpr_workgroup_id_x 1
		.amdhsa_system_sgpr_workgroup_id_y 0
		.amdhsa_system_sgpr_workgroup_id_z 0
		.amdhsa_system_sgpr_workgroup_info 0
		.amdhsa_system_vgpr_workitem_id 0
		.amdhsa_next_free_vgpr 2
		.amdhsa_next_free_sgpr 6
		.amdhsa_reserve_vcc 0
		.amdhsa_reserve_flat_scratch 0
		.amdhsa_float_round_mode_32 0
		.amdhsa_float_round_mode_16_64 0
		.amdhsa_float_denorm_mode_32 3
		.amdhsa_float_denorm_mode_16_64 3
		.amdhsa_dx10_clamp 1
		.amdhsa_ieee_mode 1
		.amdhsa_fp16_overflow 0
		.amdhsa_exception_fp_ieee_invalid_op 0
		.amdhsa_exception_fp_denorm_src 0
		.amdhsa_exception_fp_ieee_div_zero 0
		.amdhsa_exception_fp_ieee_overflow 0
		.amdhsa_exception_fp_ieee_underflow 0
		.amdhsa_exception_fp_ieee_inexact 0
		.amdhsa_exception_int_div_zero 0
	.end_amdhsa_kernel
	.section	.text._Z17warp_store_kernelILj1024ELj4ELj1ELN7rocprim17ROCPRIM_304000_NS17warp_store_methodE2EaEvPT3_S4_,"axG",@progbits,_Z17warp_store_kernelILj1024ELj4ELj1ELN7rocprim17ROCPRIM_304000_NS17warp_store_methodE2EaEvPT3_S4_,comdat
.Lfunc_end17:
	.size	_Z17warp_store_kernelILj1024ELj4ELj1ELN7rocprim17ROCPRIM_304000_NS17warp_store_methodE2EaEvPT3_S4_, .Lfunc_end17-_Z17warp_store_kernelILj1024ELj4ELj1ELN7rocprim17ROCPRIM_304000_NS17warp_store_methodE2EaEvPT3_S4_
                                        ; -- End function
	.set _Z17warp_store_kernelILj1024ELj4ELj1ELN7rocprim17ROCPRIM_304000_NS17warp_store_methodE2EaEvPT3_S4_.num_vgpr, 2
	.set _Z17warp_store_kernelILj1024ELj4ELj1ELN7rocprim17ROCPRIM_304000_NS17warp_store_methodE2EaEvPT3_S4_.num_agpr, 0
	.set _Z17warp_store_kernelILj1024ELj4ELj1ELN7rocprim17ROCPRIM_304000_NS17warp_store_methodE2EaEvPT3_S4_.numbered_sgpr, 6
	.set _Z17warp_store_kernelILj1024ELj4ELj1ELN7rocprim17ROCPRIM_304000_NS17warp_store_methodE2EaEvPT3_S4_.num_named_barrier, 0
	.set _Z17warp_store_kernelILj1024ELj4ELj1ELN7rocprim17ROCPRIM_304000_NS17warp_store_methodE2EaEvPT3_S4_.private_seg_size, 0
	.set _Z17warp_store_kernelILj1024ELj4ELj1ELN7rocprim17ROCPRIM_304000_NS17warp_store_methodE2EaEvPT3_S4_.uses_vcc, 0
	.set _Z17warp_store_kernelILj1024ELj4ELj1ELN7rocprim17ROCPRIM_304000_NS17warp_store_methodE2EaEvPT3_S4_.uses_flat_scratch, 0
	.set _Z17warp_store_kernelILj1024ELj4ELj1ELN7rocprim17ROCPRIM_304000_NS17warp_store_methodE2EaEvPT3_S4_.has_dyn_sized_stack, 0
	.set _Z17warp_store_kernelILj1024ELj4ELj1ELN7rocprim17ROCPRIM_304000_NS17warp_store_methodE2EaEvPT3_S4_.has_recursion, 0
	.set _Z17warp_store_kernelILj1024ELj4ELj1ELN7rocprim17ROCPRIM_304000_NS17warp_store_methodE2EaEvPT3_S4_.has_indirect_call, 0
	.section	.AMDGPU.csdata,"",@progbits
; Kernel info:
; codeLenInByte = 40
; TotalNumSgprs: 10
; NumVgprs: 2
; ScratchSize: 0
; MemoryBound: 0
; FloatMode: 240
; IeeeMode: 1
; LDSByteSize: 0 bytes/workgroup (compile time only)
; SGPRBlocks: 1
; VGPRBlocks: 0
; NumSGPRsForWavesPerEU: 10
; NumVGPRsForWavesPerEU: 2
; Occupancy: 10
; WaveLimiterHint : 0
; COMPUTE_PGM_RSRC2:SCRATCH_EN: 0
; COMPUTE_PGM_RSRC2:USER_SGPR: 6
; COMPUTE_PGM_RSRC2:TRAP_HANDLER: 0
; COMPUTE_PGM_RSRC2:TGID_X_EN: 1
; COMPUTE_PGM_RSRC2:TGID_Y_EN: 0
; COMPUTE_PGM_RSRC2:TGID_Z_EN: 0
; COMPUTE_PGM_RSRC2:TIDIG_COMP_CNT: 0
	.section	.text._Z17warp_store_kernelILj1024ELj4ELj1ELN7rocprim17ROCPRIM_304000_NS17warp_store_methodE1EaEvPT3_S4_,"axG",@progbits,_Z17warp_store_kernelILj1024ELj4ELj1ELN7rocprim17ROCPRIM_304000_NS17warp_store_methodE1EaEvPT3_S4_,comdat
	.protected	_Z17warp_store_kernelILj1024ELj4ELj1ELN7rocprim17ROCPRIM_304000_NS17warp_store_methodE1EaEvPT3_S4_ ; -- Begin function _Z17warp_store_kernelILj1024ELj4ELj1ELN7rocprim17ROCPRIM_304000_NS17warp_store_methodE1EaEvPT3_S4_
	.globl	_Z17warp_store_kernelILj1024ELj4ELj1ELN7rocprim17ROCPRIM_304000_NS17warp_store_methodE1EaEvPT3_S4_
	.p2align	8
	.type	_Z17warp_store_kernelILj1024ELj4ELj1ELN7rocprim17ROCPRIM_304000_NS17warp_store_methodE1EaEvPT3_S4_,@function
_Z17warp_store_kernelILj1024ELj4ELj1ELN7rocprim17ROCPRIM_304000_NS17warp_store_methodE1EaEvPT3_S4_: ; @_Z17warp_store_kernelILj1024ELj4ELj1ELN7rocprim17ROCPRIM_304000_NS17warp_store_methodE1EaEvPT3_S4_
; %bb.0:
	s_load_dwordx4 s[0:3], s[4:5], 0x0
	v_lshlrev_b32_e32 v0, 2, v0
	s_waitcnt lgkmcnt(0)
	global_load_dword v1, v0, s[0:1]
	s_waitcnt vmcnt(0)
	global_store_dword v0, v1, s[2:3]
	s_endpgm
	.section	.rodata,"a",@progbits
	.p2align	6, 0x0
	.amdhsa_kernel _Z17warp_store_kernelILj1024ELj4ELj1ELN7rocprim17ROCPRIM_304000_NS17warp_store_methodE1EaEvPT3_S4_
		.amdhsa_group_segment_fixed_size 0
		.amdhsa_private_segment_fixed_size 0
		.amdhsa_kernarg_size 16
		.amdhsa_user_sgpr_count 6
		.amdhsa_user_sgpr_private_segment_buffer 1
		.amdhsa_user_sgpr_dispatch_ptr 0
		.amdhsa_user_sgpr_queue_ptr 0
		.amdhsa_user_sgpr_kernarg_segment_ptr 1
		.amdhsa_user_sgpr_dispatch_id 0
		.amdhsa_user_sgpr_flat_scratch_init 0
		.amdhsa_user_sgpr_private_segment_size 0
		.amdhsa_uses_dynamic_stack 0
		.amdhsa_system_sgpr_private_segment_wavefront_offset 0
		.amdhsa_system_sgpr_workgroup_id_x 1
		.amdhsa_system_sgpr_workgroup_id_y 0
		.amdhsa_system_sgpr_workgroup_id_z 0
		.amdhsa_system_sgpr_workgroup_info 0
		.amdhsa_system_vgpr_workitem_id 0
		.amdhsa_next_free_vgpr 2
		.amdhsa_next_free_sgpr 6
		.amdhsa_reserve_vcc 0
		.amdhsa_reserve_flat_scratch 0
		.amdhsa_float_round_mode_32 0
		.amdhsa_float_round_mode_16_64 0
		.amdhsa_float_denorm_mode_32 3
		.amdhsa_float_denorm_mode_16_64 3
		.amdhsa_dx10_clamp 1
		.amdhsa_ieee_mode 1
		.amdhsa_fp16_overflow 0
		.amdhsa_exception_fp_ieee_invalid_op 0
		.amdhsa_exception_fp_denorm_src 0
		.amdhsa_exception_fp_ieee_div_zero 0
		.amdhsa_exception_fp_ieee_overflow 0
		.amdhsa_exception_fp_ieee_underflow 0
		.amdhsa_exception_fp_ieee_inexact 0
		.amdhsa_exception_int_div_zero 0
	.end_amdhsa_kernel
	.section	.text._Z17warp_store_kernelILj1024ELj4ELj1ELN7rocprim17ROCPRIM_304000_NS17warp_store_methodE1EaEvPT3_S4_,"axG",@progbits,_Z17warp_store_kernelILj1024ELj4ELj1ELN7rocprim17ROCPRIM_304000_NS17warp_store_methodE1EaEvPT3_S4_,comdat
.Lfunc_end18:
	.size	_Z17warp_store_kernelILj1024ELj4ELj1ELN7rocprim17ROCPRIM_304000_NS17warp_store_methodE1EaEvPT3_S4_, .Lfunc_end18-_Z17warp_store_kernelILj1024ELj4ELj1ELN7rocprim17ROCPRIM_304000_NS17warp_store_methodE1EaEvPT3_S4_
                                        ; -- End function
	.set _Z17warp_store_kernelILj1024ELj4ELj1ELN7rocprim17ROCPRIM_304000_NS17warp_store_methodE1EaEvPT3_S4_.num_vgpr, 2
	.set _Z17warp_store_kernelILj1024ELj4ELj1ELN7rocprim17ROCPRIM_304000_NS17warp_store_methodE1EaEvPT3_S4_.num_agpr, 0
	.set _Z17warp_store_kernelILj1024ELj4ELj1ELN7rocprim17ROCPRIM_304000_NS17warp_store_methodE1EaEvPT3_S4_.numbered_sgpr, 6
	.set _Z17warp_store_kernelILj1024ELj4ELj1ELN7rocprim17ROCPRIM_304000_NS17warp_store_methodE1EaEvPT3_S4_.num_named_barrier, 0
	.set _Z17warp_store_kernelILj1024ELj4ELj1ELN7rocprim17ROCPRIM_304000_NS17warp_store_methodE1EaEvPT3_S4_.private_seg_size, 0
	.set _Z17warp_store_kernelILj1024ELj4ELj1ELN7rocprim17ROCPRIM_304000_NS17warp_store_methodE1EaEvPT3_S4_.uses_vcc, 0
	.set _Z17warp_store_kernelILj1024ELj4ELj1ELN7rocprim17ROCPRIM_304000_NS17warp_store_methodE1EaEvPT3_S4_.uses_flat_scratch, 0
	.set _Z17warp_store_kernelILj1024ELj4ELj1ELN7rocprim17ROCPRIM_304000_NS17warp_store_methodE1EaEvPT3_S4_.has_dyn_sized_stack, 0
	.set _Z17warp_store_kernelILj1024ELj4ELj1ELN7rocprim17ROCPRIM_304000_NS17warp_store_methodE1EaEvPT3_S4_.has_recursion, 0
	.set _Z17warp_store_kernelILj1024ELj4ELj1ELN7rocprim17ROCPRIM_304000_NS17warp_store_methodE1EaEvPT3_S4_.has_indirect_call, 0
	.section	.AMDGPU.csdata,"",@progbits
; Kernel info:
; codeLenInByte = 40
; TotalNumSgprs: 10
; NumVgprs: 2
; ScratchSize: 0
; MemoryBound: 0
; FloatMode: 240
; IeeeMode: 1
; LDSByteSize: 0 bytes/workgroup (compile time only)
; SGPRBlocks: 1
; VGPRBlocks: 0
; NumSGPRsForWavesPerEU: 10
; NumVGPRsForWavesPerEU: 2
; Occupancy: 10
; WaveLimiterHint : 0
; COMPUTE_PGM_RSRC2:SCRATCH_EN: 0
; COMPUTE_PGM_RSRC2:USER_SGPR: 6
; COMPUTE_PGM_RSRC2:TRAP_HANDLER: 0
; COMPUTE_PGM_RSRC2:TGID_X_EN: 1
; COMPUTE_PGM_RSRC2:TGID_Y_EN: 0
; COMPUTE_PGM_RSRC2:TGID_Z_EN: 0
; COMPUTE_PGM_RSRC2:TIDIG_COMP_CNT: 0
	.section	.text._Z17warp_store_kernelILj1024ELj4ELj1ELN7rocprim17ROCPRIM_304000_NS17warp_store_methodE0EaEvPT3_S4_,"axG",@progbits,_Z17warp_store_kernelILj1024ELj4ELj1ELN7rocprim17ROCPRIM_304000_NS17warp_store_methodE0EaEvPT3_S4_,comdat
	.protected	_Z17warp_store_kernelILj1024ELj4ELj1ELN7rocprim17ROCPRIM_304000_NS17warp_store_methodE0EaEvPT3_S4_ ; -- Begin function _Z17warp_store_kernelILj1024ELj4ELj1ELN7rocprim17ROCPRIM_304000_NS17warp_store_methodE0EaEvPT3_S4_
	.globl	_Z17warp_store_kernelILj1024ELj4ELj1ELN7rocprim17ROCPRIM_304000_NS17warp_store_methodE0EaEvPT3_S4_
	.p2align	8
	.type	_Z17warp_store_kernelILj1024ELj4ELj1ELN7rocprim17ROCPRIM_304000_NS17warp_store_methodE0EaEvPT3_S4_,@function
_Z17warp_store_kernelILj1024ELj4ELj1ELN7rocprim17ROCPRIM_304000_NS17warp_store_methodE0EaEvPT3_S4_: ; @_Z17warp_store_kernelILj1024ELj4ELj1ELN7rocprim17ROCPRIM_304000_NS17warp_store_methodE0EaEvPT3_S4_
; %bb.0:
	s_load_dwordx4 s[0:3], s[4:5], 0x0
	v_lshlrev_b32_e32 v0, 2, v0
	s_waitcnt lgkmcnt(0)
	global_load_dword v1, v0, s[0:1]
	s_waitcnt vmcnt(0)
	global_store_dword v0, v1, s[2:3]
	s_endpgm
	.section	.rodata,"a",@progbits
	.p2align	6, 0x0
	.amdhsa_kernel _Z17warp_store_kernelILj1024ELj4ELj1ELN7rocprim17ROCPRIM_304000_NS17warp_store_methodE0EaEvPT3_S4_
		.amdhsa_group_segment_fixed_size 0
		.amdhsa_private_segment_fixed_size 0
		.amdhsa_kernarg_size 16
		.amdhsa_user_sgpr_count 6
		.amdhsa_user_sgpr_private_segment_buffer 1
		.amdhsa_user_sgpr_dispatch_ptr 0
		.amdhsa_user_sgpr_queue_ptr 0
		.amdhsa_user_sgpr_kernarg_segment_ptr 1
		.amdhsa_user_sgpr_dispatch_id 0
		.amdhsa_user_sgpr_flat_scratch_init 0
		.amdhsa_user_sgpr_private_segment_size 0
		.amdhsa_uses_dynamic_stack 0
		.amdhsa_system_sgpr_private_segment_wavefront_offset 0
		.amdhsa_system_sgpr_workgroup_id_x 1
		.amdhsa_system_sgpr_workgroup_id_y 0
		.amdhsa_system_sgpr_workgroup_id_z 0
		.amdhsa_system_sgpr_workgroup_info 0
		.amdhsa_system_vgpr_workitem_id 0
		.amdhsa_next_free_vgpr 2
		.amdhsa_next_free_sgpr 6
		.amdhsa_reserve_vcc 0
		.amdhsa_reserve_flat_scratch 0
		.amdhsa_float_round_mode_32 0
		.amdhsa_float_round_mode_16_64 0
		.amdhsa_float_denorm_mode_32 3
		.amdhsa_float_denorm_mode_16_64 3
		.amdhsa_dx10_clamp 1
		.amdhsa_ieee_mode 1
		.amdhsa_fp16_overflow 0
		.amdhsa_exception_fp_ieee_invalid_op 0
		.amdhsa_exception_fp_denorm_src 0
		.amdhsa_exception_fp_ieee_div_zero 0
		.amdhsa_exception_fp_ieee_overflow 0
		.amdhsa_exception_fp_ieee_underflow 0
		.amdhsa_exception_fp_ieee_inexact 0
		.amdhsa_exception_int_div_zero 0
	.end_amdhsa_kernel
	.section	.text._Z17warp_store_kernelILj1024ELj4ELj1ELN7rocprim17ROCPRIM_304000_NS17warp_store_methodE0EaEvPT3_S4_,"axG",@progbits,_Z17warp_store_kernelILj1024ELj4ELj1ELN7rocprim17ROCPRIM_304000_NS17warp_store_methodE0EaEvPT3_S4_,comdat
.Lfunc_end19:
	.size	_Z17warp_store_kernelILj1024ELj4ELj1ELN7rocprim17ROCPRIM_304000_NS17warp_store_methodE0EaEvPT3_S4_, .Lfunc_end19-_Z17warp_store_kernelILj1024ELj4ELj1ELN7rocprim17ROCPRIM_304000_NS17warp_store_methodE0EaEvPT3_S4_
                                        ; -- End function
	.set _Z17warp_store_kernelILj1024ELj4ELj1ELN7rocprim17ROCPRIM_304000_NS17warp_store_methodE0EaEvPT3_S4_.num_vgpr, 2
	.set _Z17warp_store_kernelILj1024ELj4ELj1ELN7rocprim17ROCPRIM_304000_NS17warp_store_methodE0EaEvPT3_S4_.num_agpr, 0
	.set _Z17warp_store_kernelILj1024ELj4ELj1ELN7rocprim17ROCPRIM_304000_NS17warp_store_methodE0EaEvPT3_S4_.numbered_sgpr, 6
	.set _Z17warp_store_kernelILj1024ELj4ELj1ELN7rocprim17ROCPRIM_304000_NS17warp_store_methodE0EaEvPT3_S4_.num_named_barrier, 0
	.set _Z17warp_store_kernelILj1024ELj4ELj1ELN7rocprim17ROCPRIM_304000_NS17warp_store_methodE0EaEvPT3_S4_.private_seg_size, 0
	.set _Z17warp_store_kernelILj1024ELj4ELj1ELN7rocprim17ROCPRIM_304000_NS17warp_store_methodE0EaEvPT3_S4_.uses_vcc, 0
	.set _Z17warp_store_kernelILj1024ELj4ELj1ELN7rocprim17ROCPRIM_304000_NS17warp_store_methodE0EaEvPT3_S4_.uses_flat_scratch, 0
	.set _Z17warp_store_kernelILj1024ELj4ELj1ELN7rocprim17ROCPRIM_304000_NS17warp_store_methodE0EaEvPT3_S4_.has_dyn_sized_stack, 0
	.set _Z17warp_store_kernelILj1024ELj4ELj1ELN7rocprim17ROCPRIM_304000_NS17warp_store_methodE0EaEvPT3_S4_.has_recursion, 0
	.set _Z17warp_store_kernelILj1024ELj4ELj1ELN7rocprim17ROCPRIM_304000_NS17warp_store_methodE0EaEvPT3_S4_.has_indirect_call, 0
	.section	.AMDGPU.csdata,"",@progbits
; Kernel info:
; codeLenInByte = 40
; TotalNumSgprs: 10
; NumVgprs: 2
; ScratchSize: 0
; MemoryBound: 0
; FloatMode: 240
; IeeeMode: 1
; LDSByteSize: 0 bytes/workgroup (compile time only)
; SGPRBlocks: 1
; VGPRBlocks: 0
; NumSGPRsForWavesPerEU: 10
; NumVGPRsForWavesPerEU: 2
; Occupancy: 10
; WaveLimiterHint : 0
; COMPUTE_PGM_RSRC2:SCRATCH_EN: 0
; COMPUTE_PGM_RSRC2:USER_SGPR: 6
; COMPUTE_PGM_RSRC2:TRAP_HANDLER: 0
; COMPUTE_PGM_RSRC2:TGID_X_EN: 1
; COMPUTE_PGM_RSRC2:TGID_Y_EN: 0
; COMPUTE_PGM_RSRC2:TGID_Z_EN: 0
; COMPUTE_PGM_RSRC2:TIDIG_COMP_CNT: 0
	.section	.text._Z17warp_store_kernelILj1024ELj4ELj32ELN7rocprim17ROCPRIM_304000_NS17warp_store_methodE3E15HIP_vector_typeIfLj2EEEvPT3_S6_,"axG",@progbits,_Z17warp_store_kernelILj1024ELj4ELj32ELN7rocprim17ROCPRIM_304000_NS17warp_store_methodE3E15HIP_vector_typeIfLj2EEEvPT3_S6_,comdat
	.protected	_Z17warp_store_kernelILj1024ELj4ELj32ELN7rocprim17ROCPRIM_304000_NS17warp_store_methodE3E15HIP_vector_typeIfLj2EEEvPT3_S6_ ; -- Begin function _Z17warp_store_kernelILj1024ELj4ELj32ELN7rocprim17ROCPRIM_304000_NS17warp_store_methodE3E15HIP_vector_typeIfLj2EEEvPT3_S6_
	.globl	_Z17warp_store_kernelILj1024ELj4ELj32ELN7rocprim17ROCPRIM_304000_NS17warp_store_methodE3E15HIP_vector_typeIfLj2EEEvPT3_S6_
	.p2align	8
	.type	_Z17warp_store_kernelILj1024ELj4ELj32ELN7rocprim17ROCPRIM_304000_NS17warp_store_methodE3E15HIP_vector_typeIfLj2EEEvPT3_S6_,@function
_Z17warp_store_kernelILj1024ELj4ELj32ELN7rocprim17ROCPRIM_304000_NS17warp_store_methodE3E15HIP_vector_typeIfLj2EEEvPT3_S6_: ; @_Z17warp_store_kernelILj1024ELj4ELj32ELN7rocprim17ROCPRIM_304000_NS17warp_store_methodE3E15HIP_vector_typeIfLj2EEEvPT3_S6_
; %bb.0:
	s_load_dwordx4 s[0:3], s[4:5], 0x0
	v_lshlrev_b32_e32 v8, 5, v0
	v_mbcnt_lo_u32_b32 v9, -1, 0
	v_mbcnt_hi_u32_b32 v9, -1, v9
	v_and_b32_e32 v9, 31, v9
	s_waitcnt lgkmcnt(0)
	global_load_dwordx4 v[0:3], v8, s[0:1]
	global_load_dwordx4 v[4:7], v8, s[0:1] offset:16
	v_and_b32_e32 v8, 0x7c00, v8
	s_movk_i32 s0, 0xffe8
	v_lshl_or_b32 v10, v9, 5, v8
	v_lshlrev_b32_e32 v11, 3, v9
	v_mad_i32_i24 v9, v9, s0, v10
	v_mov_b32_e32 v12, s3
	v_add_co_u32_e32 v8, vcc, s2, v8
	v_addc_co_u32_e32 v12, vcc, 0, v12, vcc
	v_add_co_u32_e32 v8, vcc, v8, v11
	s_waitcnt vmcnt(1)
	ds_write_b128 v10, v[0:3]
	s_waitcnt vmcnt(0)
	ds_write_b128 v10, v[4:7] offset:16
	; wave barrier
	ds_read2_b64 v[0:3], v9 offset1:32
	ds_read2_b64 v[4:7], v9 offset0:64 offset1:96
	v_addc_co_u32_e32 v9, vcc, 0, v12, vcc
	s_waitcnt lgkmcnt(1)
	global_store_dwordx2 v[8:9], v[0:1], off
	global_store_dwordx2 v[8:9], v[2:3], off offset:256
	s_waitcnt lgkmcnt(0)
	global_store_dwordx2 v[8:9], v[4:5], off offset:512
	global_store_dwordx2 v[8:9], v[6:7], off offset:768
	s_endpgm
	.section	.rodata,"a",@progbits
	.p2align	6, 0x0
	.amdhsa_kernel _Z17warp_store_kernelILj1024ELj4ELj32ELN7rocprim17ROCPRIM_304000_NS17warp_store_methodE3E15HIP_vector_typeIfLj2EEEvPT3_S6_
		.amdhsa_group_segment_fixed_size 32768
		.amdhsa_private_segment_fixed_size 0
		.amdhsa_kernarg_size 16
		.amdhsa_user_sgpr_count 6
		.amdhsa_user_sgpr_private_segment_buffer 1
		.amdhsa_user_sgpr_dispatch_ptr 0
		.amdhsa_user_sgpr_queue_ptr 0
		.amdhsa_user_sgpr_kernarg_segment_ptr 1
		.amdhsa_user_sgpr_dispatch_id 0
		.amdhsa_user_sgpr_flat_scratch_init 0
		.amdhsa_user_sgpr_private_segment_size 0
		.amdhsa_uses_dynamic_stack 0
		.amdhsa_system_sgpr_private_segment_wavefront_offset 0
		.amdhsa_system_sgpr_workgroup_id_x 1
		.amdhsa_system_sgpr_workgroup_id_y 0
		.amdhsa_system_sgpr_workgroup_id_z 0
		.amdhsa_system_sgpr_workgroup_info 0
		.amdhsa_system_vgpr_workitem_id 0
		.amdhsa_next_free_vgpr 29
		.amdhsa_next_free_sgpr 61
		.amdhsa_reserve_vcc 1
		.amdhsa_reserve_flat_scratch 0
		.amdhsa_float_round_mode_32 0
		.amdhsa_float_round_mode_16_64 0
		.amdhsa_float_denorm_mode_32 3
		.amdhsa_float_denorm_mode_16_64 3
		.amdhsa_dx10_clamp 1
		.amdhsa_ieee_mode 1
		.amdhsa_fp16_overflow 0
		.amdhsa_exception_fp_ieee_invalid_op 0
		.amdhsa_exception_fp_denorm_src 0
		.amdhsa_exception_fp_ieee_div_zero 0
		.amdhsa_exception_fp_ieee_overflow 0
		.amdhsa_exception_fp_ieee_underflow 0
		.amdhsa_exception_fp_ieee_inexact 0
		.amdhsa_exception_int_div_zero 0
	.end_amdhsa_kernel
	.section	.text._Z17warp_store_kernelILj1024ELj4ELj32ELN7rocprim17ROCPRIM_304000_NS17warp_store_methodE3E15HIP_vector_typeIfLj2EEEvPT3_S6_,"axG",@progbits,_Z17warp_store_kernelILj1024ELj4ELj32ELN7rocprim17ROCPRIM_304000_NS17warp_store_methodE3E15HIP_vector_typeIfLj2EEEvPT3_S6_,comdat
.Lfunc_end20:
	.size	_Z17warp_store_kernelILj1024ELj4ELj32ELN7rocprim17ROCPRIM_304000_NS17warp_store_methodE3E15HIP_vector_typeIfLj2EEEvPT3_S6_, .Lfunc_end20-_Z17warp_store_kernelILj1024ELj4ELj32ELN7rocprim17ROCPRIM_304000_NS17warp_store_methodE3E15HIP_vector_typeIfLj2EEEvPT3_S6_
                                        ; -- End function
	.set _Z17warp_store_kernelILj1024ELj4ELj32ELN7rocprim17ROCPRIM_304000_NS17warp_store_methodE3E15HIP_vector_typeIfLj2EEEvPT3_S6_.num_vgpr, 13
	.set _Z17warp_store_kernelILj1024ELj4ELj32ELN7rocprim17ROCPRIM_304000_NS17warp_store_methodE3E15HIP_vector_typeIfLj2EEEvPT3_S6_.num_agpr, 0
	.set _Z17warp_store_kernelILj1024ELj4ELj32ELN7rocprim17ROCPRIM_304000_NS17warp_store_methodE3E15HIP_vector_typeIfLj2EEEvPT3_S6_.numbered_sgpr, 6
	.set _Z17warp_store_kernelILj1024ELj4ELj32ELN7rocprim17ROCPRIM_304000_NS17warp_store_methodE3E15HIP_vector_typeIfLj2EEEvPT3_S6_.num_named_barrier, 0
	.set _Z17warp_store_kernelILj1024ELj4ELj32ELN7rocprim17ROCPRIM_304000_NS17warp_store_methodE3E15HIP_vector_typeIfLj2EEEvPT3_S6_.private_seg_size, 0
	.set _Z17warp_store_kernelILj1024ELj4ELj32ELN7rocprim17ROCPRIM_304000_NS17warp_store_methodE3E15HIP_vector_typeIfLj2EEEvPT3_S6_.uses_vcc, 1
	.set _Z17warp_store_kernelILj1024ELj4ELj32ELN7rocprim17ROCPRIM_304000_NS17warp_store_methodE3E15HIP_vector_typeIfLj2EEEvPT3_S6_.uses_flat_scratch, 0
	.set _Z17warp_store_kernelILj1024ELj4ELj32ELN7rocprim17ROCPRIM_304000_NS17warp_store_methodE3E15HIP_vector_typeIfLj2EEEvPT3_S6_.has_dyn_sized_stack, 0
	.set _Z17warp_store_kernelILj1024ELj4ELj32ELN7rocprim17ROCPRIM_304000_NS17warp_store_methodE3E15HIP_vector_typeIfLj2EEEvPT3_S6_.has_recursion, 0
	.set _Z17warp_store_kernelILj1024ELj4ELj32ELN7rocprim17ROCPRIM_304000_NS17warp_store_methodE3E15HIP_vector_typeIfLj2EEEvPT3_S6_.has_indirect_call, 0
	.section	.AMDGPU.csdata,"",@progbits
; Kernel info:
; codeLenInByte = 188
; TotalNumSgprs: 10
; NumVgprs: 13
; ScratchSize: 0
; MemoryBound: 1
; FloatMode: 240
; IeeeMode: 1
; LDSByteSize: 32768 bytes/workgroup (compile time only)
; SGPRBlocks: 8
; VGPRBlocks: 7
; NumSGPRsForWavesPerEU: 65
; NumVGPRsForWavesPerEU: 29
; Occupancy: 8
; WaveLimiterHint : 1
; COMPUTE_PGM_RSRC2:SCRATCH_EN: 0
; COMPUTE_PGM_RSRC2:USER_SGPR: 6
; COMPUTE_PGM_RSRC2:TRAP_HANDLER: 0
; COMPUTE_PGM_RSRC2:TGID_X_EN: 1
; COMPUTE_PGM_RSRC2:TGID_Y_EN: 0
; COMPUTE_PGM_RSRC2:TGID_Z_EN: 0
; COMPUTE_PGM_RSRC2:TIDIG_COMP_CNT: 0
	.section	.text._Z17warp_store_kernelILj1024ELj4ELj32ELN7rocprim17ROCPRIM_304000_NS17warp_store_methodE2E15HIP_vector_typeIfLj2EEEvPT3_S6_,"axG",@progbits,_Z17warp_store_kernelILj1024ELj4ELj32ELN7rocprim17ROCPRIM_304000_NS17warp_store_methodE2E15HIP_vector_typeIfLj2EEEvPT3_S6_,comdat
	.protected	_Z17warp_store_kernelILj1024ELj4ELj32ELN7rocprim17ROCPRIM_304000_NS17warp_store_methodE2E15HIP_vector_typeIfLj2EEEvPT3_S6_ ; -- Begin function _Z17warp_store_kernelILj1024ELj4ELj32ELN7rocprim17ROCPRIM_304000_NS17warp_store_methodE2E15HIP_vector_typeIfLj2EEEvPT3_S6_
	.globl	_Z17warp_store_kernelILj1024ELj4ELj32ELN7rocprim17ROCPRIM_304000_NS17warp_store_methodE2E15HIP_vector_typeIfLj2EEEvPT3_S6_
	.p2align	8
	.type	_Z17warp_store_kernelILj1024ELj4ELj32ELN7rocprim17ROCPRIM_304000_NS17warp_store_methodE2E15HIP_vector_typeIfLj2EEEvPT3_S6_,@function
_Z17warp_store_kernelILj1024ELj4ELj32ELN7rocprim17ROCPRIM_304000_NS17warp_store_methodE2E15HIP_vector_typeIfLj2EEEvPT3_S6_: ; @_Z17warp_store_kernelILj1024ELj4ELj32ELN7rocprim17ROCPRIM_304000_NS17warp_store_methodE2E15HIP_vector_typeIfLj2EEEvPT3_S6_
; %bb.0:
	s_load_dwordx4 s[0:3], s[4:5], 0x0
	v_lshlrev_b32_e32 v8, 5, v0
	v_mbcnt_lo_u32_b32 v9, -1, 0
	v_mbcnt_hi_u32_b32 v9, -1, v9
	v_lshlrev_b32_e32 v9, 5, v9
	s_waitcnt lgkmcnt(0)
	global_load_dwordx4 v[0:3], v8, s[0:1]
	global_load_dwordx4 v[4:7], v8, s[0:1] offset:16
	v_and_b32_e32 v8, 0x7c00, v8
	v_mov_b32_e32 v10, s3
	v_add_co_u32_e32 v8, vcc, s2, v8
	v_and_b32_e32 v9, 0x3e0, v9
	v_addc_co_u32_e32 v10, vcc, 0, v10, vcc
	v_add_co_u32_e32 v8, vcc, v8, v9
	v_addc_co_u32_e32 v9, vcc, 0, v10, vcc
	s_waitcnt vmcnt(1)
	global_store_dwordx4 v[8:9], v[0:3], off
	s_waitcnt vmcnt(1)
	global_store_dwordx4 v[8:9], v[4:7], off offset:16
	s_endpgm
	.section	.rodata,"a",@progbits
	.p2align	6, 0x0
	.amdhsa_kernel _Z17warp_store_kernelILj1024ELj4ELj32ELN7rocprim17ROCPRIM_304000_NS17warp_store_methodE2E15HIP_vector_typeIfLj2EEEvPT3_S6_
		.amdhsa_group_segment_fixed_size 0
		.amdhsa_private_segment_fixed_size 0
		.amdhsa_kernarg_size 16
		.amdhsa_user_sgpr_count 6
		.amdhsa_user_sgpr_private_segment_buffer 1
		.amdhsa_user_sgpr_dispatch_ptr 0
		.amdhsa_user_sgpr_queue_ptr 0
		.amdhsa_user_sgpr_kernarg_segment_ptr 1
		.amdhsa_user_sgpr_dispatch_id 0
		.amdhsa_user_sgpr_flat_scratch_init 0
		.amdhsa_user_sgpr_private_segment_size 0
		.amdhsa_uses_dynamic_stack 0
		.amdhsa_system_sgpr_private_segment_wavefront_offset 0
		.amdhsa_system_sgpr_workgroup_id_x 1
		.amdhsa_system_sgpr_workgroup_id_y 0
		.amdhsa_system_sgpr_workgroup_id_z 0
		.amdhsa_system_sgpr_workgroup_info 0
		.amdhsa_system_vgpr_workitem_id 0
		.amdhsa_next_free_vgpr 11
		.amdhsa_next_free_sgpr 6
		.amdhsa_reserve_vcc 1
		.amdhsa_reserve_flat_scratch 0
		.amdhsa_float_round_mode_32 0
		.amdhsa_float_round_mode_16_64 0
		.amdhsa_float_denorm_mode_32 3
		.amdhsa_float_denorm_mode_16_64 3
		.amdhsa_dx10_clamp 1
		.amdhsa_ieee_mode 1
		.amdhsa_fp16_overflow 0
		.amdhsa_exception_fp_ieee_invalid_op 0
		.amdhsa_exception_fp_denorm_src 0
		.amdhsa_exception_fp_ieee_div_zero 0
		.amdhsa_exception_fp_ieee_overflow 0
		.amdhsa_exception_fp_ieee_underflow 0
		.amdhsa_exception_fp_ieee_inexact 0
		.amdhsa_exception_int_div_zero 0
	.end_amdhsa_kernel
	.section	.text._Z17warp_store_kernelILj1024ELj4ELj32ELN7rocprim17ROCPRIM_304000_NS17warp_store_methodE2E15HIP_vector_typeIfLj2EEEvPT3_S6_,"axG",@progbits,_Z17warp_store_kernelILj1024ELj4ELj32ELN7rocprim17ROCPRIM_304000_NS17warp_store_methodE2E15HIP_vector_typeIfLj2EEEvPT3_S6_,comdat
.Lfunc_end21:
	.size	_Z17warp_store_kernelILj1024ELj4ELj32ELN7rocprim17ROCPRIM_304000_NS17warp_store_methodE2E15HIP_vector_typeIfLj2EEEvPT3_S6_, .Lfunc_end21-_Z17warp_store_kernelILj1024ELj4ELj32ELN7rocprim17ROCPRIM_304000_NS17warp_store_methodE2E15HIP_vector_typeIfLj2EEEvPT3_S6_
                                        ; -- End function
	.set _Z17warp_store_kernelILj1024ELj4ELj32ELN7rocprim17ROCPRIM_304000_NS17warp_store_methodE2E15HIP_vector_typeIfLj2EEEvPT3_S6_.num_vgpr, 11
	.set _Z17warp_store_kernelILj1024ELj4ELj32ELN7rocprim17ROCPRIM_304000_NS17warp_store_methodE2E15HIP_vector_typeIfLj2EEEvPT3_S6_.num_agpr, 0
	.set _Z17warp_store_kernelILj1024ELj4ELj32ELN7rocprim17ROCPRIM_304000_NS17warp_store_methodE2E15HIP_vector_typeIfLj2EEEvPT3_S6_.numbered_sgpr, 6
	.set _Z17warp_store_kernelILj1024ELj4ELj32ELN7rocprim17ROCPRIM_304000_NS17warp_store_methodE2E15HIP_vector_typeIfLj2EEEvPT3_S6_.num_named_barrier, 0
	.set _Z17warp_store_kernelILj1024ELj4ELj32ELN7rocprim17ROCPRIM_304000_NS17warp_store_methodE2E15HIP_vector_typeIfLj2EEEvPT3_S6_.private_seg_size, 0
	.set _Z17warp_store_kernelILj1024ELj4ELj32ELN7rocprim17ROCPRIM_304000_NS17warp_store_methodE2E15HIP_vector_typeIfLj2EEEvPT3_S6_.uses_vcc, 1
	.set _Z17warp_store_kernelILj1024ELj4ELj32ELN7rocprim17ROCPRIM_304000_NS17warp_store_methodE2E15HIP_vector_typeIfLj2EEEvPT3_S6_.uses_flat_scratch, 0
	.set _Z17warp_store_kernelILj1024ELj4ELj32ELN7rocprim17ROCPRIM_304000_NS17warp_store_methodE2E15HIP_vector_typeIfLj2EEEvPT3_S6_.has_dyn_sized_stack, 0
	.set _Z17warp_store_kernelILj1024ELj4ELj32ELN7rocprim17ROCPRIM_304000_NS17warp_store_methodE2E15HIP_vector_typeIfLj2EEEvPT3_S6_.has_recursion, 0
	.set _Z17warp_store_kernelILj1024ELj4ELj32ELN7rocprim17ROCPRIM_304000_NS17warp_store_methodE2E15HIP_vector_typeIfLj2EEEvPT3_S6_.has_indirect_call, 0
	.section	.AMDGPU.csdata,"",@progbits
; Kernel info:
; codeLenInByte = 116
; TotalNumSgprs: 10
; NumVgprs: 11
; ScratchSize: 0
; MemoryBound: 0
; FloatMode: 240
; IeeeMode: 1
; LDSByteSize: 0 bytes/workgroup (compile time only)
; SGPRBlocks: 1
; VGPRBlocks: 2
; NumSGPRsForWavesPerEU: 10
; NumVGPRsForWavesPerEU: 11
; Occupancy: 10
; WaveLimiterHint : 0
; COMPUTE_PGM_RSRC2:SCRATCH_EN: 0
; COMPUTE_PGM_RSRC2:USER_SGPR: 6
; COMPUTE_PGM_RSRC2:TRAP_HANDLER: 0
; COMPUTE_PGM_RSRC2:TGID_X_EN: 1
; COMPUTE_PGM_RSRC2:TGID_Y_EN: 0
; COMPUTE_PGM_RSRC2:TGID_Z_EN: 0
; COMPUTE_PGM_RSRC2:TIDIG_COMP_CNT: 0
	.section	.text._Z17warp_store_kernelILj1024ELj4ELj32ELN7rocprim17ROCPRIM_304000_NS17warp_store_methodE1E15HIP_vector_typeIfLj2EEEvPT3_S6_,"axG",@progbits,_Z17warp_store_kernelILj1024ELj4ELj32ELN7rocprim17ROCPRIM_304000_NS17warp_store_methodE1E15HIP_vector_typeIfLj2EEEvPT3_S6_,comdat
	.protected	_Z17warp_store_kernelILj1024ELj4ELj32ELN7rocprim17ROCPRIM_304000_NS17warp_store_methodE1E15HIP_vector_typeIfLj2EEEvPT3_S6_ ; -- Begin function _Z17warp_store_kernelILj1024ELj4ELj32ELN7rocprim17ROCPRIM_304000_NS17warp_store_methodE1E15HIP_vector_typeIfLj2EEEvPT3_S6_
	.globl	_Z17warp_store_kernelILj1024ELj4ELj32ELN7rocprim17ROCPRIM_304000_NS17warp_store_methodE1E15HIP_vector_typeIfLj2EEEvPT3_S6_
	.p2align	8
	.type	_Z17warp_store_kernelILj1024ELj4ELj32ELN7rocprim17ROCPRIM_304000_NS17warp_store_methodE1E15HIP_vector_typeIfLj2EEEvPT3_S6_,@function
_Z17warp_store_kernelILj1024ELj4ELj32ELN7rocprim17ROCPRIM_304000_NS17warp_store_methodE1E15HIP_vector_typeIfLj2EEEvPT3_S6_: ; @_Z17warp_store_kernelILj1024ELj4ELj32ELN7rocprim17ROCPRIM_304000_NS17warp_store_methodE1E15HIP_vector_typeIfLj2EEEvPT3_S6_
; %bb.0:
	s_load_dwordx4 s[0:3], s[4:5], 0x0
	v_lshlrev_b32_e32 v8, 5, v0
	v_mbcnt_lo_u32_b32 v9, -1, 0
	v_mbcnt_hi_u32_b32 v9, -1, v9
	v_and_b32_e32 v9, 31, v9
	s_waitcnt lgkmcnt(0)
	global_load_dwordx4 v[0:3], v8, s[0:1]
	global_load_dwordx4 v[4:7], v8, s[0:1] offset:16
	v_and_b32_e32 v8, 0x7c00, v8
	v_mov_b32_e32 v10, s3
	v_add_co_u32_e32 v8, vcc, s2, v8
	v_lshlrev_b32_e32 v9, 3, v9
	v_addc_co_u32_e32 v10, vcc, 0, v10, vcc
	v_add_co_u32_e32 v8, vcc, v8, v9
	v_addc_co_u32_e32 v9, vcc, 0, v10, vcc
	s_waitcnt vmcnt(1)
	global_store_dwordx2 v[8:9], v[0:1], off
	global_store_dwordx2 v[8:9], v[2:3], off offset:256
	s_waitcnt vmcnt(2)
	global_store_dwordx2 v[8:9], v[4:5], off offset:512
	global_store_dwordx2 v[8:9], v[6:7], off offset:768
	s_endpgm
	.section	.rodata,"a",@progbits
	.p2align	6, 0x0
	.amdhsa_kernel _Z17warp_store_kernelILj1024ELj4ELj32ELN7rocprim17ROCPRIM_304000_NS17warp_store_methodE1E15HIP_vector_typeIfLj2EEEvPT3_S6_
		.amdhsa_group_segment_fixed_size 0
		.amdhsa_private_segment_fixed_size 0
		.amdhsa_kernarg_size 16
		.amdhsa_user_sgpr_count 6
		.amdhsa_user_sgpr_private_segment_buffer 1
		.amdhsa_user_sgpr_dispatch_ptr 0
		.amdhsa_user_sgpr_queue_ptr 0
		.amdhsa_user_sgpr_kernarg_segment_ptr 1
		.amdhsa_user_sgpr_dispatch_id 0
		.amdhsa_user_sgpr_flat_scratch_init 0
		.amdhsa_user_sgpr_private_segment_size 0
		.amdhsa_uses_dynamic_stack 0
		.amdhsa_system_sgpr_private_segment_wavefront_offset 0
		.amdhsa_system_sgpr_workgroup_id_x 1
		.amdhsa_system_sgpr_workgroup_id_y 0
		.amdhsa_system_sgpr_workgroup_id_z 0
		.amdhsa_system_sgpr_workgroup_info 0
		.amdhsa_system_vgpr_workitem_id 0
		.amdhsa_next_free_vgpr 11
		.amdhsa_next_free_sgpr 6
		.amdhsa_reserve_vcc 1
		.amdhsa_reserve_flat_scratch 0
		.amdhsa_float_round_mode_32 0
		.amdhsa_float_round_mode_16_64 0
		.amdhsa_float_denorm_mode_32 3
		.amdhsa_float_denorm_mode_16_64 3
		.amdhsa_dx10_clamp 1
		.amdhsa_ieee_mode 1
		.amdhsa_fp16_overflow 0
		.amdhsa_exception_fp_ieee_invalid_op 0
		.amdhsa_exception_fp_denorm_src 0
		.amdhsa_exception_fp_ieee_div_zero 0
		.amdhsa_exception_fp_ieee_overflow 0
		.amdhsa_exception_fp_ieee_underflow 0
		.amdhsa_exception_fp_ieee_inexact 0
		.amdhsa_exception_int_div_zero 0
	.end_amdhsa_kernel
	.section	.text._Z17warp_store_kernelILj1024ELj4ELj32ELN7rocprim17ROCPRIM_304000_NS17warp_store_methodE1E15HIP_vector_typeIfLj2EEEvPT3_S6_,"axG",@progbits,_Z17warp_store_kernelILj1024ELj4ELj32ELN7rocprim17ROCPRIM_304000_NS17warp_store_methodE1E15HIP_vector_typeIfLj2EEEvPT3_S6_,comdat
.Lfunc_end22:
	.size	_Z17warp_store_kernelILj1024ELj4ELj32ELN7rocprim17ROCPRIM_304000_NS17warp_store_methodE1E15HIP_vector_typeIfLj2EEEvPT3_S6_, .Lfunc_end22-_Z17warp_store_kernelILj1024ELj4ELj32ELN7rocprim17ROCPRIM_304000_NS17warp_store_methodE1E15HIP_vector_typeIfLj2EEEvPT3_S6_
                                        ; -- End function
	.set _Z17warp_store_kernelILj1024ELj4ELj32ELN7rocprim17ROCPRIM_304000_NS17warp_store_methodE1E15HIP_vector_typeIfLj2EEEvPT3_S6_.num_vgpr, 11
	.set _Z17warp_store_kernelILj1024ELj4ELj32ELN7rocprim17ROCPRIM_304000_NS17warp_store_methodE1E15HIP_vector_typeIfLj2EEEvPT3_S6_.num_agpr, 0
	.set _Z17warp_store_kernelILj1024ELj4ELj32ELN7rocprim17ROCPRIM_304000_NS17warp_store_methodE1E15HIP_vector_typeIfLj2EEEvPT3_S6_.numbered_sgpr, 6
	.set _Z17warp_store_kernelILj1024ELj4ELj32ELN7rocprim17ROCPRIM_304000_NS17warp_store_methodE1E15HIP_vector_typeIfLj2EEEvPT3_S6_.num_named_barrier, 0
	.set _Z17warp_store_kernelILj1024ELj4ELj32ELN7rocprim17ROCPRIM_304000_NS17warp_store_methodE1E15HIP_vector_typeIfLj2EEEvPT3_S6_.private_seg_size, 0
	.set _Z17warp_store_kernelILj1024ELj4ELj32ELN7rocprim17ROCPRIM_304000_NS17warp_store_methodE1E15HIP_vector_typeIfLj2EEEvPT3_S6_.uses_vcc, 1
	.set _Z17warp_store_kernelILj1024ELj4ELj32ELN7rocprim17ROCPRIM_304000_NS17warp_store_methodE1E15HIP_vector_typeIfLj2EEEvPT3_S6_.uses_flat_scratch, 0
	.set _Z17warp_store_kernelILj1024ELj4ELj32ELN7rocprim17ROCPRIM_304000_NS17warp_store_methodE1E15HIP_vector_typeIfLj2EEEvPT3_S6_.has_dyn_sized_stack, 0
	.set _Z17warp_store_kernelILj1024ELj4ELj32ELN7rocprim17ROCPRIM_304000_NS17warp_store_methodE1E15HIP_vector_typeIfLj2EEEvPT3_S6_.has_recursion, 0
	.set _Z17warp_store_kernelILj1024ELj4ELj32ELN7rocprim17ROCPRIM_304000_NS17warp_store_methodE1E15HIP_vector_typeIfLj2EEEvPT3_S6_.has_indirect_call, 0
	.section	.AMDGPU.csdata,"",@progbits
; Kernel info:
; codeLenInByte = 128
; TotalNumSgprs: 10
; NumVgprs: 11
; ScratchSize: 0
; MemoryBound: 0
; FloatMode: 240
; IeeeMode: 1
; LDSByteSize: 0 bytes/workgroup (compile time only)
; SGPRBlocks: 1
; VGPRBlocks: 2
; NumSGPRsForWavesPerEU: 10
; NumVGPRsForWavesPerEU: 11
; Occupancy: 10
; WaveLimiterHint : 1
; COMPUTE_PGM_RSRC2:SCRATCH_EN: 0
; COMPUTE_PGM_RSRC2:USER_SGPR: 6
; COMPUTE_PGM_RSRC2:TRAP_HANDLER: 0
; COMPUTE_PGM_RSRC2:TGID_X_EN: 1
; COMPUTE_PGM_RSRC2:TGID_Y_EN: 0
; COMPUTE_PGM_RSRC2:TGID_Z_EN: 0
; COMPUTE_PGM_RSRC2:TIDIG_COMP_CNT: 0
	.section	.text._Z17warp_store_kernelILj1024ELj4ELj32ELN7rocprim17ROCPRIM_304000_NS17warp_store_methodE0E15HIP_vector_typeIfLj2EEEvPT3_S6_,"axG",@progbits,_Z17warp_store_kernelILj1024ELj4ELj32ELN7rocprim17ROCPRIM_304000_NS17warp_store_methodE0E15HIP_vector_typeIfLj2EEEvPT3_S6_,comdat
	.protected	_Z17warp_store_kernelILj1024ELj4ELj32ELN7rocprim17ROCPRIM_304000_NS17warp_store_methodE0E15HIP_vector_typeIfLj2EEEvPT3_S6_ ; -- Begin function _Z17warp_store_kernelILj1024ELj4ELj32ELN7rocprim17ROCPRIM_304000_NS17warp_store_methodE0E15HIP_vector_typeIfLj2EEEvPT3_S6_
	.globl	_Z17warp_store_kernelILj1024ELj4ELj32ELN7rocprim17ROCPRIM_304000_NS17warp_store_methodE0E15HIP_vector_typeIfLj2EEEvPT3_S6_
	.p2align	8
	.type	_Z17warp_store_kernelILj1024ELj4ELj32ELN7rocprim17ROCPRIM_304000_NS17warp_store_methodE0E15HIP_vector_typeIfLj2EEEvPT3_S6_,@function
_Z17warp_store_kernelILj1024ELj4ELj32ELN7rocprim17ROCPRIM_304000_NS17warp_store_methodE0E15HIP_vector_typeIfLj2EEEvPT3_S6_: ; @_Z17warp_store_kernelILj1024ELj4ELj32ELN7rocprim17ROCPRIM_304000_NS17warp_store_methodE0E15HIP_vector_typeIfLj2EEEvPT3_S6_
; %bb.0:
	s_load_dwordx4 s[0:3], s[4:5], 0x0
	v_lshlrev_b32_e32 v8, 5, v0
	v_mbcnt_lo_u32_b32 v9, -1, 0
	v_mbcnt_hi_u32_b32 v9, -1, v9
	v_lshlrev_b32_e32 v9, 5, v9
	s_waitcnt lgkmcnt(0)
	global_load_dwordx4 v[0:3], v8, s[0:1]
	global_load_dwordx4 v[4:7], v8, s[0:1] offset:16
	v_and_b32_e32 v8, 0x7c00, v8
	v_mov_b32_e32 v10, s3
	v_add_co_u32_e32 v8, vcc, s2, v8
	v_and_b32_e32 v9, 0x3e0, v9
	v_addc_co_u32_e32 v10, vcc, 0, v10, vcc
	v_add_co_u32_e32 v8, vcc, v8, v9
	v_addc_co_u32_e32 v9, vcc, 0, v10, vcc
	s_waitcnt vmcnt(1)
	global_store_dwordx4 v[8:9], v[0:3], off
	s_waitcnt vmcnt(1)
	global_store_dwordx4 v[8:9], v[4:7], off offset:16
	s_endpgm
	.section	.rodata,"a",@progbits
	.p2align	6, 0x0
	.amdhsa_kernel _Z17warp_store_kernelILj1024ELj4ELj32ELN7rocprim17ROCPRIM_304000_NS17warp_store_methodE0E15HIP_vector_typeIfLj2EEEvPT3_S6_
		.amdhsa_group_segment_fixed_size 0
		.amdhsa_private_segment_fixed_size 0
		.amdhsa_kernarg_size 16
		.amdhsa_user_sgpr_count 6
		.amdhsa_user_sgpr_private_segment_buffer 1
		.amdhsa_user_sgpr_dispatch_ptr 0
		.amdhsa_user_sgpr_queue_ptr 0
		.amdhsa_user_sgpr_kernarg_segment_ptr 1
		.amdhsa_user_sgpr_dispatch_id 0
		.amdhsa_user_sgpr_flat_scratch_init 0
		.amdhsa_user_sgpr_private_segment_size 0
		.amdhsa_uses_dynamic_stack 0
		.amdhsa_system_sgpr_private_segment_wavefront_offset 0
		.amdhsa_system_sgpr_workgroup_id_x 1
		.amdhsa_system_sgpr_workgroup_id_y 0
		.amdhsa_system_sgpr_workgroup_id_z 0
		.amdhsa_system_sgpr_workgroup_info 0
		.amdhsa_system_vgpr_workitem_id 0
		.amdhsa_next_free_vgpr 11
		.amdhsa_next_free_sgpr 6
		.amdhsa_reserve_vcc 1
		.amdhsa_reserve_flat_scratch 0
		.amdhsa_float_round_mode_32 0
		.amdhsa_float_round_mode_16_64 0
		.amdhsa_float_denorm_mode_32 3
		.amdhsa_float_denorm_mode_16_64 3
		.amdhsa_dx10_clamp 1
		.amdhsa_ieee_mode 1
		.amdhsa_fp16_overflow 0
		.amdhsa_exception_fp_ieee_invalid_op 0
		.amdhsa_exception_fp_denorm_src 0
		.amdhsa_exception_fp_ieee_div_zero 0
		.amdhsa_exception_fp_ieee_overflow 0
		.amdhsa_exception_fp_ieee_underflow 0
		.amdhsa_exception_fp_ieee_inexact 0
		.amdhsa_exception_int_div_zero 0
	.end_amdhsa_kernel
	.section	.text._Z17warp_store_kernelILj1024ELj4ELj32ELN7rocprim17ROCPRIM_304000_NS17warp_store_methodE0E15HIP_vector_typeIfLj2EEEvPT3_S6_,"axG",@progbits,_Z17warp_store_kernelILj1024ELj4ELj32ELN7rocprim17ROCPRIM_304000_NS17warp_store_methodE0E15HIP_vector_typeIfLj2EEEvPT3_S6_,comdat
.Lfunc_end23:
	.size	_Z17warp_store_kernelILj1024ELj4ELj32ELN7rocprim17ROCPRIM_304000_NS17warp_store_methodE0E15HIP_vector_typeIfLj2EEEvPT3_S6_, .Lfunc_end23-_Z17warp_store_kernelILj1024ELj4ELj32ELN7rocprim17ROCPRIM_304000_NS17warp_store_methodE0E15HIP_vector_typeIfLj2EEEvPT3_S6_
                                        ; -- End function
	.set _Z17warp_store_kernelILj1024ELj4ELj32ELN7rocprim17ROCPRIM_304000_NS17warp_store_methodE0E15HIP_vector_typeIfLj2EEEvPT3_S6_.num_vgpr, 11
	.set _Z17warp_store_kernelILj1024ELj4ELj32ELN7rocprim17ROCPRIM_304000_NS17warp_store_methodE0E15HIP_vector_typeIfLj2EEEvPT3_S6_.num_agpr, 0
	.set _Z17warp_store_kernelILj1024ELj4ELj32ELN7rocprim17ROCPRIM_304000_NS17warp_store_methodE0E15HIP_vector_typeIfLj2EEEvPT3_S6_.numbered_sgpr, 6
	.set _Z17warp_store_kernelILj1024ELj4ELj32ELN7rocprim17ROCPRIM_304000_NS17warp_store_methodE0E15HIP_vector_typeIfLj2EEEvPT3_S6_.num_named_barrier, 0
	.set _Z17warp_store_kernelILj1024ELj4ELj32ELN7rocprim17ROCPRIM_304000_NS17warp_store_methodE0E15HIP_vector_typeIfLj2EEEvPT3_S6_.private_seg_size, 0
	.set _Z17warp_store_kernelILj1024ELj4ELj32ELN7rocprim17ROCPRIM_304000_NS17warp_store_methodE0E15HIP_vector_typeIfLj2EEEvPT3_S6_.uses_vcc, 1
	.set _Z17warp_store_kernelILj1024ELj4ELj32ELN7rocprim17ROCPRIM_304000_NS17warp_store_methodE0E15HIP_vector_typeIfLj2EEEvPT3_S6_.uses_flat_scratch, 0
	.set _Z17warp_store_kernelILj1024ELj4ELj32ELN7rocprim17ROCPRIM_304000_NS17warp_store_methodE0E15HIP_vector_typeIfLj2EEEvPT3_S6_.has_dyn_sized_stack, 0
	.set _Z17warp_store_kernelILj1024ELj4ELj32ELN7rocprim17ROCPRIM_304000_NS17warp_store_methodE0E15HIP_vector_typeIfLj2EEEvPT3_S6_.has_recursion, 0
	.set _Z17warp_store_kernelILj1024ELj4ELj32ELN7rocprim17ROCPRIM_304000_NS17warp_store_methodE0E15HIP_vector_typeIfLj2EEEvPT3_S6_.has_indirect_call, 0
	.section	.AMDGPU.csdata,"",@progbits
; Kernel info:
; codeLenInByte = 116
; TotalNumSgprs: 10
; NumVgprs: 11
; ScratchSize: 0
; MemoryBound: 0
; FloatMode: 240
; IeeeMode: 1
; LDSByteSize: 0 bytes/workgroup (compile time only)
; SGPRBlocks: 1
; VGPRBlocks: 2
; NumSGPRsForWavesPerEU: 10
; NumVGPRsForWavesPerEU: 11
; Occupancy: 10
; WaveLimiterHint : 0
; COMPUTE_PGM_RSRC2:SCRATCH_EN: 0
; COMPUTE_PGM_RSRC2:USER_SGPR: 6
; COMPUTE_PGM_RSRC2:TRAP_HANDLER: 0
; COMPUTE_PGM_RSRC2:TGID_X_EN: 1
; COMPUTE_PGM_RSRC2:TGID_Y_EN: 0
; COMPUTE_PGM_RSRC2:TGID_Z_EN: 0
; COMPUTE_PGM_RSRC2:TIDIG_COMP_CNT: 0
	.section	.text._Z17warp_store_kernelILj1024ELj4ELj64ELN7rocprim17ROCPRIM_304000_NS17warp_store_methodE3EiEvPT3_S4_,"axG",@progbits,_Z17warp_store_kernelILj1024ELj4ELj64ELN7rocprim17ROCPRIM_304000_NS17warp_store_methodE3EiEvPT3_S4_,comdat
	.protected	_Z17warp_store_kernelILj1024ELj4ELj64ELN7rocprim17ROCPRIM_304000_NS17warp_store_methodE3EiEvPT3_S4_ ; -- Begin function _Z17warp_store_kernelILj1024ELj4ELj64ELN7rocprim17ROCPRIM_304000_NS17warp_store_methodE3EiEvPT3_S4_
	.globl	_Z17warp_store_kernelILj1024ELj4ELj64ELN7rocprim17ROCPRIM_304000_NS17warp_store_methodE3EiEvPT3_S4_
	.p2align	8
	.type	_Z17warp_store_kernelILj1024ELj4ELj64ELN7rocprim17ROCPRIM_304000_NS17warp_store_methodE3EiEvPT3_S4_,@function
_Z17warp_store_kernelILj1024ELj4ELj64ELN7rocprim17ROCPRIM_304000_NS17warp_store_methodE3EiEvPT3_S4_: ; @_Z17warp_store_kernelILj1024ELj4ELj64ELN7rocprim17ROCPRIM_304000_NS17warp_store_methodE3EiEvPT3_S4_
; %bb.0:
	s_load_dwordx4 s[0:3], s[4:5], 0x0
	v_lshlrev_b32_e32 v4, 4, v0
	v_mbcnt_lo_u32_b32 v5, -1, 0
	v_mbcnt_hi_u32_b32 v5, -1, v5
	v_lshlrev_b32_e32 v6, 2, v5
	s_waitcnt lgkmcnt(0)
	global_load_dwordx4 v[0:3], v4, s[0:1]
	v_and_b32_e32 v4, 0x3c00, v4
	v_lshlrev_b32_e32 v5, 4, v5
	v_add_u32_e32 v7, v4, v5
	v_or_b32_e32 v8, v4, v6
	v_mov_b32_e32 v9, s3
	v_add_co_u32_e32 v4, vcc, s2, v4
	v_addc_co_u32_e32 v9, vcc, 0, v9, vcc
	v_add_co_u32_e32 v4, vcc, v4, v6
	v_and_b32_e32 v5, 0x400, v5
	v_addc_co_u32_e32 v6, vcc, 0, v9, vcc
	v_add_co_u32_e32 v4, vcc, v4, v5
	v_addc_co_u32_e32 v5, vcc, 0, v6, vcc
	s_waitcnt vmcnt(0)
	ds_write_b128 v7, v[0:3]
	; wave barrier
	ds_read2st64_b32 v[0:1], v8 offset1:1
	ds_read2st64_b32 v[2:3], v8 offset0:2 offset1:3
	s_waitcnt lgkmcnt(1)
	global_store_dword v[4:5], v0, off
	global_store_dword v[4:5], v1, off offset:256
	s_waitcnt lgkmcnt(0)
	global_store_dword v[4:5], v2, off offset:512
	global_store_dword v[4:5], v3, off offset:768
	s_endpgm
	.section	.rodata,"a",@progbits
	.p2align	6, 0x0
	.amdhsa_kernel _Z17warp_store_kernelILj1024ELj4ELj64ELN7rocprim17ROCPRIM_304000_NS17warp_store_methodE3EiEvPT3_S4_
		.amdhsa_group_segment_fixed_size 16384
		.amdhsa_private_segment_fixed_size 0
		.amdhsa_kernarg_size 16
		.amdhsa_user_sgpr_count 6
		.amdhsa_user_sgpr_private_segment_buffer 1
		.amdhsa_user_sgpr_dispatch_ptr 0
		.amdhsa_user_sgpr_queue_ptr 0
		.amdhsa_user_sgpr_kernarg_segment_ptr 1
		.amdhsa_user_sgpr_dispatch_id 0
		.amdhsa_user_sgpr_flat_scratch_init 0
		.amdhsa_user_sgpr_private_segment_size 0
		.amdhsa_uses_dynamic_stack 0
		.amdhsa_system_sgpr_private_segment_wavefront_offset 0
		.amdhsa_system_sgpr_workgroup_id_x 1
		.amdhsa_system_sgpr_workgroup_id_y 0
		.amdhsa_system_sgpr_workgroup_id_z 0
		.amdhsa_system_sgpr_workgroup_info 0
		.amdhsa_system_vgpr_workitem_id 0
		.amdhsa_next_free_vgpr 29
		.amdhsa_next_free_sgpr 61
		.amdhsa_reserve_vcc 1
		.amdhsa_reserve_flat_scratch 0
		.amdhsa_float_round_mode_32 0
		.amdhsa_float_round_mode_16_64 0
		.amdhsa_float_denorm_mode_32 3
		.amdhsa_float_denorm_mode_16_64 3
		.amdhsa_dx10_clamp 1
		.amdhsa_ieee_mode 1
		.amdhsa_fp16_overflow 0
		.amdhsa_exception_fp_ieee_invalid_op 0
		.amdhsa_exception_fp_denorm_src 0
		.amdhsa_exception_fp_ieee_div_zero 0
		.amdhsa_exception_fp_ieee_overflow 0
		.amdhsa_exception_fp_ieee_underflow 0
		.amdhsa_exception_fp_ieee_inexact 0
		.amdhsa_exception_int_div_zero 0
	.end_amdhsa_kernel
	.section	.text._Z17warp_store_kernelILj1024ELj4ELj64ELN7rocprim17ROCPRIM_304000_NS17warp_store_methodE3EiEvPT3_S4_,"axG",@progbits,_Z17warp_store_kernelILj1024ELj4ELj64ELN7rocprim17ROCPRIM_304000_NS17warp_store_methodE3EiEvPT3_S4_,comdat
.Lfunc_end24:
	.size	_Z17warp_store_kernelILj1024ELj4ELj64ELN7rocprim17ROCPRIM_304000_NS17warp_store_methodE3EiEvPT3_S4_, .Lfunc_end24-_Z17warp_store_kernelILj1024ELj4ELj64ELN7rocprim17ROCPRIM_304000_NS17warp_store_methodE3EiEvPT3_S4_
                                        ; -- End function
	.set _Z17warp_store_kernelILj1024ELj4ELj64ELN7rocprim17ROCPRIM_304000_NS17warp_store_methodE3EiEvPT3_S4_.num_vgpr, 10
	.set _Z17warp_store_kernelILj1024ELj4ELj64ELN7rocprim17ROCPRIM_304000_NS17warp_store_methodE3EiEvPT3_S4_.num_agpr, 0
	.set _Z17warp_store_kernelILj1024ELj4ELj64ELN7rocprim17ROCPRIM_304000_NS17warp_store_methodE3EiEvPT3_S4_.numbered_sgpr, 6
	.set _Z17warp_store_kernelILj1024ELj4ELj64ELN7rocprim17ROCPRIM_304000_NS17warp_store_methodE3EiEvPT3_S4_.num_named_barrier, 0
	.set _Z17warp_store_kernelILj1024ELj4ELj64ELN7rocprim17ROCPRIM_304000_NS17warp_store_methodE3EiEvPT3_S4_.private_seg_size, 0
	.set _Z17warp_store_kernelILj1024ELj4ELj64ELN7rocprim17ROCPRIM_304000_NS17warp_store_methodE3EiEvPT3_S4_.uses_vcc, 1
	.set _Z17warp_store_kernelILj1024ELj4ELj64ELN7rocprim17ROCPRIM_304000_NS17warp_store_methodE3EiEvPT3_S4_.uses_flat_scratch, 0
	.set _Z17warp_store_kernelILj1024ELj4ELj64ELN7rocprim17ROCPRIM_304000_NS17warp_store_methodE3EiEvPT3_S4_.has_dyn_sized_stack, 0
	.set _Z17warp_store_kernelILj1024ELj4ELj64ELN7rocprim17ROCPRIM_304000_NS17warp_store_methodE3EiEvPT3_S4_.has_recursion, 0
	.set _Z17warp_store_kernelILj1024ELj4ELj64ELN7rocprim17ROCPRIM_304000_NS17warp_store_methodE3EiEvPT3_S4_.has_indirect_call, 0
	.section	.AMDGPU.csdata,"",@progbits
; Kernel info:
; codeLenInByte = 172
; TotalNumSgprs: 10
; NumVgprs: 10
; ScratchSize: 0
; MemoryBound: 0
; FloatMode: 240
; IeeeMode: 1
; LDSByteSize: 16384 bytes/workgroup (compile time only)
; SGPRBlocks: 8
; VGPRBlocks: 7
; NumSGPRsForWavesPerEU: 65
; NumVGPRsForWavesPerEU: 29
; Occupancy: 8
; WaveLimiterHint : 1
; COMPUTE_PGM_RSRC2:SCRATCH_EN: 0
; COMPUTE_PGM_RSRC2:USER_SGPR: 6
; COMPUTE_PGM_RSRC2:TRAP_HANDLER: 0
; COMPUTE_PGM_RSRC2:TGID_X_EN: 1
; COMPUTE_PGM_RSRC2:TGID_Y_EN: 0
; COMPUTE_PGM_RSRC2:TGID_Z_EN: 0
; COMPUTE_PGM_RSRC2:TIDIG_COMP_CNT: 0
	.section	.text._Z17warp_store_kernelILj1024ELj4ELj64ELN7rocprim17ROCPRIM_304000_NS17warp_store_methodE2EiEvPT3_S4_,"axG",@progbits,_Z17warp_store_kernelILj1024ELj4ELj64ELN7rocprim17ROCPRIM_304000_NS17warp_store_methodE2EiEvPT3_S4_,comdat
	.protected	_Z17warp_store_kernelILj1024ELj4ELj64ELN7rocprim17ROCPRIM_304000_NS17warp_store_methodE2EiEvPT3_S4_ ; -- Begin function _Z17warp_store_kernelILj1024ELj4ELj64ELN7rocprim17ROCPRIM_304000_NS17warp_store_methodE2EiEvPT3_S4_
	.globl	_Z17warp_store_kernelILj1024ELj4ELj64ELN7rocprim17ROCPRIM_304000_NS17warp_store_methodE2EiEvPT3_S4_
	.p2align	8
	.type	_Z17warp_store_kernelILj1024ELj4ELj64ELN7rocprim17ROCPRIM_304000_NS17warp_store_methodE2EiEvPT3_S4_,@function
_Z17warp_store_kernelILj1024ELj4ELj64ELN7rocprim17ROCPRIM_304000_NS17warp_store_methodE2EiEvPT3_S4_: ; @_Z17warp_store_kernelILj1024ELj4ELj64ELN7rocprim17ROCPRIM_304000_NS17warp_store_methodE2EiEvPT3_S4_
; %bb.0:
	s_load_dwordx4 s[0:3], s[4:5], 0x0
	v_lshlrev_b32_e32 v4, 4, v0
	v_mbcnt_lo_u32_b32 v6, -1, 0
	v_mbcnt_hi_u32_b32 v6, -1, v6
	v_lshlrev_b32_e32 v6, 4, v6
	s_waitcnt lgkmcnt(0)
	global_load_dwordx4 v[0:3], v4, s[0:1]
	v_and_b32_e32 v4, 0x3c00, v4
	v_mov_b32_e32 v5, s3
	v_add_co_u32_e32 v4, vcc, s2, v4
	v_addc_co_u32_e32 v5, vcc, 0, v5, vcc
	v_add_co_u32_e32 v4, vcc, v4, v6
	v_addc_co_u32_e32 v5, vcc, 0, v5, vcc
	s_waitcnt vmcnt(0)
	global_store_dwordx4 v[4:5], v[0:3], off
	s_endpgm
	.section	.rodata,"a",@progbits
	.p2align	6, 0x0
	.amdhsa_kernel _Z17warp_store_kernelILj1024ELj4ELj64ELN7rocprim17ROCPRIM_304000_NS17warp_store_methodE2EiEvPT3_S4_
		.amdhsa_group_segment_fixed_size 0
		.amdhsa_private_segment_fixed_size 0
		.amdhsa_kernarg_size 16
		.amdhsa_user_sgpr_count 6
		.amdhsa_user_sgpr_private_segment_buffer 1
		.amdhsa_user_sgpr_dispatch_ptr 0
		.amdhsa_user_sgpr_queue_ptr 0
		.amdhsa_user_sgpr_kernarg_segment_ptr 1
		.amdhsa_user_sgpr_dispatch_id 0
		.amdhsa_user_sgpr_flat_scratch_init 0
		.amdhsa_user_sgpr_private_segment_size 0
		.amdhsa_uses_dynamic_stack 0
		.amdhsa_system_sgpr_private_segment_wavefront_offset 0
		.amdhsa_system_sgpr_workgroup_id_x 1
		.amdhsa_system_sgpr_workgroup_id_y 0
		.amdhsa_system_sgpr_workgroup_id_z 0
		.amdhsa_system_sgpr_workgroup_info 0
		.amdhsa_system_vgpr_workitem_id 0
		.amdhsa_next_free_vgpr 7
		.amdhsa_next_free_sgpr 6
		.amdhsa_reserve_vcc 1
		.amdhsa_reserve_flat_scratch 0
		.amdhsa_float_round_mode_32 0
		.amdhsa_float_round_mode_16_64 0
		.amdhsa_float_denorm_mode_32 3
		.amdhsa_float_denorm_mode_16_64 3
		.amdhsa_dx10_clamp 1
		.amdhsa_ieee_mode 1
		.amdhsa_fp16_overflow 0
		.amdhsa_exception_fp_ieee_invalid_op 0
		.amdhsa_exception_fp_denorm_src 0
		.amdhsa_exception_fp_ieee_div_zero 0
		.amdhsa_exception_fp_ieee_overflow 0
		.amdhsa_exception_fp_ieee_underflow 0
		.amdhsa_exception_fp_ieee_inexact 0
		.amdhsa_exception_int_div_zero 0
	.end_amdhsa_kernel
	.section	.text._Z17warp_store_kernelILj1024ELj4ELj64ELN7rocprim17ROCPRIM_304000_NS17warp_store_methodE2EiEvPT3_S4_,"axG",@progbits,_Z17warp_store_kernelILj1024ELj4ELj64ELN7rocprim17ROCPRIM_304000_NS17warp_store_methodE2EiEvPT3_S4_,comdat
.Lfunc_end25:
	.size	_Z17warp_store_kernelILj1024ELj4ELj64ELN7rocprim17ROCPRIM_304000_NS17warp_store_methodE2EiEvPT3_S4_, .Lfunc_end25-_Z17warp_store_kernelILj1024ELj4ELj64ELN7rocprim17ROCPRIM_304000_NS17warp_store_methodE2EiEvPT3_S4_
                                        ; -- End function
	.set _Z17warp_store_kernelILj1024ELj4ELj64ELN7rocprim17ROCPRIM_304000_NS17warp_store_methodE2EiEvPT3_S4_.num_vgpr, 7
	.set _Z17warp_store_kernelILj1024ELj4ELj64ELN7rocprim17ROCPRIM_304000_NS17warp_store_methodE2EiEvPT3_S4_.num_agpr, 0
	.set _Z17warp_store_kernelILj1024ELj4ELj64ELN7rocprim17ROCPRIM_304000_NS17warp_store_methodE2EiEvPT3_S4_.numbered_sgpr, 6
	.set _Z17warp_store_kernelILj1024ELj4ELj64ELN7rocprim17ROCPRIM_304000_NS17warp_store_methodE2EiEvPT3_S4_.num_named_barrier, 0
	.set _Z17warp_store_kernelILj1024ELj4ELj64ELN7rocprim17ROCPRIM_304000_NS17warp_store_methodE2EiEvPT3_S4_.private_seg_size, 0
	.set _Z17warp_store_kernelILj1024ELj4ELj64ELN7rocprim17ROCPRIM_304000_NS17warp_store_methodE2EiEvPT3_S4_.uses_vcc, 1
	.set _Z17warp_store_kernelILj1024ELj4ELj64ELN7rocprim17ROCPRIM_304000_NS17warp_store_methodE2EiEvPT3_S4_.uses_flat_scratch, 0
	.set _Z17warp_store_kernelILj1024ELj4ELj64ELN7rocprim17ROCPRIM_304000_NS17warp_store_methodE2EiEvPT3_S4_.has_dyn_sized_stack, 0
	.set _Z17warp_store_kernelILj1024ELj4ELj64ELN7rocprim17ROCPRIM_304000_NS17warp_store_methodE2EiEvPT3_S4_.has_recursion, 0
	.set _Z17warp_store_kernelILj1024ELj4ELj64ELN7rocprim17ROCPRIM_304000_NS17warp_store_methodE2EiEvPT3_S4_.has_indirect_call, 0
	.section	.AMDGPU.csdata,"",@progbits
; Kernel info:
; codeLenInByte = 88
; TotalNumSgprs: 10
; NumVgprs: 7
; ScratchSize: 0
; MemoryBound: 0
; FloatMode: 240
; IeeeMode: 1
; LDSByteSize: 0 bytes/workgroup (compile time only)
; SGPRBlocks: 1
; VGPRBlocks: 1
; NumSGPRsForWavesPerEU: 10
; NumVGPRsForWavesPerEU: 7
; Occupancy: 10
; WaveLimiterHint : 0
; COMPUTE_PGM_RSRC2:SCRATCH_EN: 0
; COMPUTE_PGM_RSRC2:USER_SGPR: 6
; COMPUTE_PGM_RSRC2:TRAP_HANDLER: 0
; COMPUTE_PGM_RSRC2:TGID_X_EN: 1
; COMPUTE_PGM_RSRC2:TGID_Y_EN: 0
; COMPUTE_PGM_RSRC2:TGID_Z_EN: 0
; COMPUTE_PGM_RSRC2:TIDIG_COMP_CNT: 0
	.section	.text._Z17warp_store_kernelILj1024ELj4ELj64ELN7rocprim17ROCPRIM_304000_NS17warp_store_methodE1EiEvPT3_S4_,"axG",@progbits,_Z17warp_store_kernelILj1024ELj4ELj64ELN7rocprim17ROCPRIM_304000_NS17warp_store_methodE1EiEvPT3_S4_,comdat
	.protected	_Z17warp_store_kernelILj1024ELj4ELj64ELN7rocprim17ROCPRIM_304000_NS17warp_store_methodE1EiEvPT3_S4_ ; -- Begin function _Z17warp_store_kernelILj1024ELj4ELj64ELN7rocprim17ROCPRIM_304000_NS17warp_store_methodE1EiEvPT3_S4_
	.globl	_Z17warp_store_kernelILj1024ELj4ELj64ELN7rocprim17ROCPRIM_304000_NS17warp_store_methodE1EiEvPT3_S4_
	.p2align	8
	.type	_Z17warp_store_kernelILj1024ELj4ELj64ELN7rocprim17ROCPRIM_304000_NS17warp_store_methodE1EiEvPT3_S4_,@function
_Z17warp_store_kernelILj1024ELj4ELj64ELN7rocprim17ROCPRIM_304000_NS17warp_store_methodE1EiEvPT3_S4_: ; @_Z17warp_store_kernelILj1024ELj4ELj64ELN7rocprim17ROCPRIM_304000_NS17warp_store_methodE1EiEvPT3_S4_
; %bb.0:
	s_load_dwordx4 s[0:3], s[4:5], 0x0
	v_lshlrev_b32_e32 v4, 4, v0
	v_mbcnt_lo_u32_b32 v5, -1, 0
	v_mbcnt_hi_u32_b32 v5, -1, v5
	v_lshlrev_b32_e32 v6, 2, v5
	s_waitcnt lgkmcnt(0)
	global_load_dwordx4 v[0:3], v4, s[0:1]
	v_and_b32_e32 v4, 0x3c00, v4
	v_mov_b32_e32 v7, s3
	v_add_co_u32_e32 v4, vcc, s2, v4
	v_addc_co_u32_e32 v7, vcc, 0, v7, vcc
	v_lshlrev_b32_e32 v5, 4, v5
	v_add_co_u32_e32 v4, vcc, v4, v6
	v_and_b32_e32 v5, 0x400, v5
	v_addc_co_u32_e32 v6, vcc, 0, v7, vcc
	v_add_co_u32_e32 v4, vcc, v4, v5
	v_addc_co_u32_e32 v5, vcc, 0, v6, vcc
	s_waitcnt vmcnt(0)
	global_store_dword v[4:5], v0, off
	global_store_dword v[4:5], v1, off offset:256
	global_store_dword v[4:5], v2, off offset:512
	;; [unrolled: 1-line block ×3, first 2 shown]
	s_endpgm
	.section	.rodata,"a",@progbits
	.p2align	6, 0x0
	.amdhsa_kernel _Z17warp_store_kernelILj1024ELj4ELj64ELN7rocprim17ROCPRIM_304000_NS17warp_store_methodE1EiEvPT3_S4_
		.amdhsa_group_segment_fixed_size 0
		.amdhsa_private_segment_fixed_size 0
		.amdhsa_kernarg_size 16
		.amdhsa_user_sgpr_count 6
		.amdhsa_user_sgpr_private_segment_buffer 1
		.amdhsa_user_sgpr_dispatch_ptr 0
		.amdhsa_user_sgpr_queue_ptr 0
		.amdhsa_user_sgpr_kernarg_segment_ptr 1
		.amdhsa_user_sgpr_dispatch_id 0
		.amdhsa_user_sgpr_flat_scratch_init 0
		.amdhsa_user_sgpr_private_segment_size 0
		.amdhsa_uses_dynamic_stack 0
		.amdhsa_system_sgpr_private_segment_wavefront_offset 0
		.amdhsa_system_sgpr_workgroup_id_x 1
		.amdhsa_system_sgpr_workgroup_id_y 0
		.amdhsa_system_sgpr_workgroup_id_z 0
		.amdhsa_system_sgpr_workgroup_info 0
		.amdhsa_system_vgpr_workitem_id 0
		.amdhsa_next_free_vgpr 8
		.amdhsa_next_free_sgpr 6
		.amdhsa_reserve_vcc 1
		.amdhsa_reserve_flat_scratch 0
		.amdhsa_float_round_mode_32 0
		.amdhsa_float_round_mode_16_64 0
		.amdhsa_float_denorm_mode_32 3
		.amdhsa_float_denorm_mode_16_64 3
		.amdhsa_dx10_clamp 1
		.amdhsa_ieee_mode 1
		.amdhsa_fp16_overflow 0
		.amdhsa_exception_fp_ieee_invalid_op 0
		.amdhsa_exception_fp_denorm_src 0
		.amdhsa_exception_fp_ieee_div_zero 0
		.amdhsa_exception_fp_ieee_overflow 0
		.amdhsa_exception_fp_ieee_underflow 0
		.amdhsa_exception_fp_ieee_inexact 0
		.amdhsa_exception_int_div_zero 0
	.end_amdhsa_kernel
	.section	.text._Z17warp_store_kernelILj1024ELj4ELj64ELN7rocprim17ROCPRIM_304000_NS17warp_store_methodE1EiEvPT3_S4_,"axG",@progbits,_Z17warp_store_kernelILj1024ELj4ELj64ELN7rocprim17ROCPRIM_304000_NS17warp_store_methodE1EiEvPT3_S4_,comdat
.Lfunc_end26:
	.size	_Z17warp_store_kernelILj1024ELj4ELj64ELN7rocprim17ROCPRIM_304000_NS17warp_store_methodE1EiEvPT3_S4_, .Lfunc_end26-_Z17warp_store_kernelILj1024ELj4ELj64ELN7rocprim17ROCPRIM_304000_NS17warp_store_methodE1EiEvPT3_S4_
                                        ; -- End function
	.set _Z17warp_store_kernelILj1024ELj4ELj64ELN7rocprim17ROCPRIM_304000_NS17warp_store_methodE1EiEvPT3_S4_.num_vgpr, 8
	.set _Z17warp_store_kernelILj1024ELj4ELj64ELN7rocprim17ROCPRIM_304000_NS17warp_store_methodE1EiEvPT3_S4_.num_agpr, 0
	.set _Z17warp_store_kernelILj1024ELj4ELj64ELN7rocprim17ROCPRIM_304000_NS17warp_store_methodE1EiEvPT3_S4_.numbered_sgpr, 6
	.set _Z17warp_store_kernelILj1024ELj4ELj64ELN7rocprim17ROCPRIM_304000_NS17warp_store_methodE1EiEvPT3_S4_.num_named_barrier, 0
	.set _Z17warp_store_kernelILj1024ELj4ELj64ELN7rocprim17ROCPRIM_304000_NS17warp_store_methodE1EiEvPT3_S4_.private_seg_size, 0
	.set _Z17warp_store_kernelILj1024ELj4ELj64ELN7rocprim17ROCPRIM_304000_NS17warp_store_methodE1EiEvPT3_S4_.uses_vcc, 1
	.set _Z17warp_store_kernelILj1024ELj4ELj64ELN7rocprim17ROCPRIM_304000_NS17warp_store_methodE1EiEvPT3_S4_.uses_flat_scratch, 0
	.set _Z17warp_store_kernelILj1024ELj4ELj64ELN7rocprim17ROCPRIM_304000_NS17warp_store_methodE1EiEvPT3_S4_.has_dyn_sized_stack, 0
	.set _Z17warp_store_kernelILj1024ELj4ELj64ELN7rocprim17ROCPRIM_304000_NS17warp_store_methodE1EiEvPT3_S4_.has_recursion, 0
	.set _Z17warp_store_kernelILj1024ELj4ELj64ELN7rocprim17ROCPRIM_304000_NS17warp_store_methodE1EiEvPT3_S4_.has_indirect_call, 0
	.section	.AMDGPU.csdata,"",@progbits
; Kernel info:
; codeLenInByte = 132
; TotalNumSgprs: 10
; NumVgprs: 8
; ScratchSize: 0
; MemoryBound: 0
; FloatMode: 240
; IeeeMode: 1
; LDSByteSize: 0 bytes/workgroup (compile time only)
; SGPRBlocks: 1
; VGPRBlocks: 1
; NumSGPRsForWavesPerEU: 10
; NumVGPRsForWavesPerEU: 8
; Occupancy: 10
; WaveLimiterHint : 1
; COMPUTE_PGM_RSRC2:SCRATCH_EN: 0
; COMPUTE_PGM_RSRC2:USER_SGPR: 6
; COMPUTE_PGM_RSRC2:TRAP_HANDLER: 0
; COMPUTE_PGM_RSRC2:TGID_X_EN: 1
; COMPUTE_PGM_RSRC2:TGID_Y_EN: 0
; COMPUTE_PGM_RSRC2:TGID_Z_EN: 0
; COMPUTE_PGM_RSRC2:TIDIG_COMP_CNT: 0
	.section	.text._Z17warp_store_kernelILj1024ELj4ELj64ELN7rocprim17ROCPRIM_304000_NS17warp_store_methodE0EiEvPT3_S4_,"axG",@progbits,_Z17warp_store_kernelILj1024ELj4ELj64ELN7rocprim17ROCPRIM_304000_NS17warp_store_methodE0EiEvPT3_S4_,comdat
	.protected	_Z17warp_store_kernelILj1024ELj4ELj64ELN7rocprim17ROCPRIM_304000_NS17warp_store_methodE0EiEvPT3_S4_ ; -- Begin function _Z17warp_store_kernelILj1024ELj4ELj64ELN7rocprim17ROCPRIM_304000_NS17warp_store_methodE0EiEvPT3_S4_
	.globl	_Z17warp_store_kernelILj1024ELj4ELj64ELN7rocprim17ROCPRIM_304000_NS17warp_store_methodE0EiEvPT3_S4_
	.p2align	8
	.type	_Z17warp_store_kernelILj1024ELj4ELj64ELN7rocprim17ROCPRIM_304000_NS17warp_store_methodE0EiEvPT3_S4_,@function
_Z17warp_store_kernelILj1024ELj4ELj64ELN7rocprim17ROCPRIM_304000_NS17warp_store_methodE0EiEvPT3_S4_: ; @_Z17warp_store_kernelILj1024ELj4ELj64ELN7rocprim17ROCPRIM_304000_NS17warp_store_methodE0EiEvPT3_S4_
; %bb.0:
	s_load_dwordx4 s[0:3], s[4:5], 0x0
	v_lshlrev_b32_e32 v4, 4, v0
	v_mbcnt_lo_u32_b32 v6, -1, 0
	v_mbcnt_hi_u32_b32 v6, -1, v6
	v_lshlrev_b32_e32 v6, 4, v6
	s_waitcnt lgkmcnt(0)
	global_load_dwordx4 v[0:3], v4, s[0:1]
	v_and_b32_e32 v4, 0x3c00, v4
	v_mov_b32_e32 v5, s3
	v_add_co_u32_e32 v4, vcc, s2, v4
	v_addc_co_u32_e32 v5, vcc, 0, v5, vcc
	v_add_co_u32_e32 v4, vcc, v4, v6
	v_addc_co_u32_e32 v5, vcc, 0, v5, vcc
	s_waitcnt vmcnt(0)
	global_store_dwordx4 v[4:5], v[0:3], off
	s_endpgm
	.section	.rodata,"a",@progbits
	.p2align	6, 0x0
	.amdhsa_kernel _Z17warp_store_kernelILj1024ELj4ELj64ELN7rocprim17ROCPRIM_304000_NS17warp_store_methodE0EiEvPT3_S4_
		.amdhsa_group_segment_fixed_size 0
		.amdhsa_private_segment_fixed_size 0
		.amdhsa_kernarg_size 16
		.amdhsa_user_sgpr_count 6
		.amdhsa_user_sgpr_private_segment_buffer 1
		.amdhsa_user_sgpr_dispatch_ptr 0
		.amdhsa_user_sgpr_queue_ptr 0
		.amdhsa_user_sgpr_kernarg_segment_ptr 1
		.amdhsa_user_sgpr_dispatch_id 0
		.amdhsa_user_sgpr_flat_scratch_init 0
		.amdhsa_user_sgpr_private_segment_size 0
		.amdhsa_uses_dynamic_stack 0
		.amdhsa_system_sgpr_private_segment_wavefront_offset 0
		.amdhsa_system_sgpr_workgroup_id_x 1
		.amdhsa_system_sgpr_workgroup_id_y 0
		.amdhsa_system_sgpr_workgroup_id_z 0
		.amdhsa_system_sgpr_workgroup_info 0
		.amdhsa_system_vgpr_workitem_id 0
		.amdhsa_next_free_vgpr 7
		.amdhsa_next_free_sgpr 6
		.amdhsa_reserve_vcc 1
		.amdhsa_reserve_flat_scratch 0
		.amdhsa_float_round_mode_32 0
		.amdhsa_float_round_mode_16_64 0
		.amdhsa_float_denorm_mode_32 3
		.amdhsa_float_denorm_mode_16_64 3
		.amdhsa_dx10_clamp 1
		.amdhsa_ieee_mode 1
		.amdhsa_fp16_overflow 0
		.amdhsa_exception_fp_ieee_invalid_op 0
		.amdhsa_exception_fp_denorm_src 0
		.amdhsa_exception_fp_ieee_div_zero 0
		.amdhsa_exception_fp_ieee_overflow 0
		.amdhsa_exception_fp_ieee_underflow 0
		.amdhsa_exception_fp_ieee_inexact 0
		.amdhsa_exception_int_div_zero 0
	.end_amdhsa_kernel
	.section	.text._Z17warp_store_kernelILj1024ELj4ELj64ELN7rocprim17ROCPRIM_304000_NS17warp_store_methodE0EiEvPT3_S4_,"axG",@progbits,_Z17warp_store_kernelILj1024ELj4ELj64ELN7rocprim17ROCPRIM_304000_NS17warp_store_methodE0EiEvPT3_S4_,comdat
.Lfunc_end27:
	.size	_Z17warp_store_kernelILj1024ELj4ELj64ELN7rocprim17ROCPRIM_304000_NS17warp_store_methodE0EiEvPT3_S4_, .Lfunc_end27-_Z17warp_store_kernelILj1024ELj4ELj64ELN7rocprim17ROCPRIM_304000_NS17warp_store_methodE0EiEvPT3_S4_
                                        ; -- End function
	.set _Z17warp_store_kernelILj1024ELj4ELj64ELN7rocprim17ROCPRIM_304000_NS17warp_store_methodE0EiEvPT3_S4_.num_vgpr, 7
	.set _Z17warp_store_kernelILj1024ELj4ELj64ELN7rocprim17ROCPRIM_304000_NS17warp_store_methodE0EiEvPT3_S4_.num_agpr, 0
	.set _Z17warp_store_kernelILj1024ELj4ELj64ELN7rocprim17ROCPRIM_304000_NS17warp_store_methodE0EiEvPT3_S4_.numbered_sgpr, 6
	.set _Z17warp_store_kernelILj1024ELj4ELj64ELN7rocprim17ROCPRIM_304000_NS17warp_store_methodE0EiEvPT3_S4_.num_named_barrier, 0
	.set _Z17warp_store_kernelILj1024ELj4ELj64ELN7rocprim17ROCPRIM_304000_NS17warp_store_methodE0EiEvPT3_S4_.private_seg_size, 0
	.set _Z17warp_store_kernelILj1024ELj4ELj64ELN7rocprim17ROCPRIM_304000_NS17warp_store_methodE0EiEvPT3_S4_.uses_vcc, 1
	.set _Z17warp_store_kernelILj1024ELj4ELj64ELN7rocprim17ROCPRIM_304000_NS17warp_store_methodE0EiEvPT3_S4_.uses_flat_scratch, 0
	.set _Z17warp_store_kernelILj1024ELj4ELj64ELN7rocprim17ROCPRIM_304000_NS17warp_store_methodE0EiEvPT3_S4_.has_dyn_sized_stack, 0
	.set _Z17warp_store_kernelILj1024ELj4ELj64ELN7rocprim17ROCPRIM_304000_NS17warp_store_methodE0EiEvPT3_S4_.has_recursion, 0
	.set _Z17warp_store_kernelILj1024ELj4ELj64ELN7rocprim17ROCPRIM_304000_NS17warp_store_methodE0EiEvPT3_S4_.has_indirect_call, 0
	.section	.AMDGPU.csdata,"",@progbits
; Kernel info:
; codeLenInByte = 88
; TotalNumSgprs: 10
; NumVgprs: 7
; ScratchSize: 0
; MemoryBound: 0
; FloatMode: 240
; IeeeMode: 1
; LDSByteSize: 0 bytes/workgroup (compile time only)
; SGPRBlocks: 1
; VGPRBlocks: 1
; NumSGPRsForWavesPerEU: 10
; NumVGPRsForWavesPerEU: 7
; Occupancy: 10
; WaveLimiterHint : 0
; COMPUTE_PGM_RSRC2:SCRATCH_EN: 0
; COMPUTE_PGM_RSRC2:USER_SGPR: 6
; COMPUTE_PGM_RSRC2:TRAP_HANDLER: 0
; COMPUTE_PGM_RSRC2:TGID_X_EN: 1
; COMPUTE_PGM_RSRC2:TGID_Y_EN: 0
; COMPUTE_PGM_RSRC2:TGID_Z_EN: 0
; COMPUTE_PGM_RSRC2:TIDIG_COMP_CNT: 0
	.section	.text._Z17warp_store_kernelILj1024ELj5ELj32ELN7rocprim17ROCPRIM_304000_NS17warp_store_methodE3EiEvPT3_S4_,"axG",@progbits,_Z17warp_store_kernelILj1024ELj5ELj32ELN7rocprim17ROCPRIM_304000_NS17warp_store_methodE3EiEvPT3_S4_,comdat
	.protected	_Z17warp_store_kernelILj1024ELj5ELj32ELN7rocprim17ROCPRIM_304000_NS17warp_store_methodE3EiEvPT3_S4_ ; -- Begin function _Z17warp_store_kernelILj1024ELj5ELj32ELN7rocprim17ROCPRIM_304000_NS17warp_store_methodE3EiEvPT3_S4_
	.globl	_Z17warp_store_kernelILj1024ELj5ELj32ELN7rocprim17ROCPRIM_304000_NS17warp_store_methodE3EiEvPT3_S4_
	.p2align	8
	.type	_Z17warp_store_kernelILj1024ELj5ELj32ELN7rocprim17ROCPRIM_304000_NS17warp_store_methodE3EiEvPT3_S4_,@function
_Z17warp_store_kernelILj1024ELj5ELj32ELN7rocprim17ROCPRIM_304000_NS17warp_store_methodE3EiEvPT3_S4_: ; @_Z17warp_store_kernelILj1024ELj5ELj32ELN7rocprim17ROCPRIM_304000_NS17warp_store_methodE3EiEvPT3_S4_
; %bb.0:
	s_load_dwordx4 s[0:3], s[4:5], 0x0
	v_mul_u32_u24_e32 v1, 5, v0
	v_lshlrev_b32_e32 v5, 2, v1
	v_lshrrev_b32_e32 v0, 5, v0
	v_mul_u32_u24_e32 v7, 0xa0, v0
	s_waitcnt lgkmcnt(0)
	global_load_dwordx4 v[1:4], v5, s[0:1]
	global_load_dword v6, v5, s[0:1] offset:16
	v_mbcnt_lo_u32_b32 v5, -1, 0
	v_mbcnt_hi_u32_b32 v5, -1, v5
	v_and_b32_e32 v5, 31, v5
	s_movk_i32 s0, 0x280
	v_mul_u32_u24_e32 v8, 20, v5
	v_lshlrev_b32_e32 v9, 4, v5
	v_mad_u32_u24 v0, v0, s0, v8
	v_sub_u32_e32 v8, v0, v9
	v_lshlrev_b32_e32 v7, 2, v7
	v_mov_b32_e32 v9, s3
	v_add_co_u32_e32 v7, vcc, s2, v7
	v_lshlrev_b32_e32 v5, 2, v5
	v_addc_co_u32_e32 v9, vcc, 0, v9, vcc
	s_waitcnt vmcnt(1)
	ds_write2_b32 v0, v1, v2 offset1:1
	ds_write2_b32 v0, v3, v4 offset0:2 offset1:3
	s_waitcnt vmcnt(0)
	ds_write_b32 v0, v6 offset:16
	; wave barrier
	ds_read2_b32 v[0:1], v8 offset1:32
	ds_read2_b32 v[2:3], v8 offset0:64 offset1:96
	v_add_co_u32_e32 v4, vcc, v7, v5
	v_addc_co_u32_e32 v5, vcc, 0, v9, vcc
	ds_read_b32 v6, v8 offset:512
	s_waitcnt lgkmcnt(2)
	global_store_dword v[4:5], v0, off
	global_store_dword v[4:5], v1, off offset:128
	s_waitcnt lgkmcnt(1)
	global_store_dword v[4:5], v2, off offset:256
	global_store_dword v[4:5], v3, off offset:384
	s_waitcnt lgkmcnt(0)
	global_store_dword v[4:5], v6, off offset:512
	s_endpgm
	.section	.rodata,"a",@progbits
	.p2align	6, 0x0
	.amdhsa_kernel _Z17warp_store_kernelILj1024ELj5ELj32ELN7rocprim17ROCPRIM_304000_NS17warp_store_methodE3EiEvPT3_S4_
		.amdhsa_group_segment_fixed_size 20480
		.amdhsa_private_segment_fixed_size 0
		.amdhsa_kernarg_size 16
		.amdhsa_user_sgpr_count 6
		.amdhsa_user_sgpr_private_segment_buffer 1
		.amdhsa_user_sgpr_dispatch_ptr 0
		.amdhsa_user_sgpr_queue_ptr 0
		.amdhsa_user_sgpr_kernarg_segment_ptr 1
		.amdhsa_user_sgpr_dispatch_id 0
		.amdhsa_user_sgpr_flat_scratch_init 0
		.amdhsa_user_sgpr_private_segment_size 0
		.amdhsa_uses_dynamic_stack 0
		.amdhsa_system_sgpr_private_segment_wavefront_offset 0
		.amdhsa_system_sgpr_workgroup_id_x 1
		.amdhsa_system_sgpr_workgroup_id_y 0
		.amdhsa_system_sgpr_workgroup_id_z 0
		.amdhsa_system_sgpr_workgroup_info 0
		.amdhsa_system_vgpr_workitem_id 0
		.amdhsa_next_free_vgpr 29
		.amdhsa_next_free_sgpr 61
		.amdhsa_reserve_vcc 1
		.amdhsa_reserve_flat_scratch 0
		.amdhsa_float_round_mode_32 0
		.amdhsa_float_round_mode_16_64 0
		.amdhsa_float_denorm_mode_32 3
		.amdhsa_float_denorm_mode_16_64 3
		.amdhsa_dx10_clamp 1
		.amdhsa_ieee_mode 1
		.amdhsa_fp16_overflow 0
		.amdhsa_exception_fp_ieee_invalid_op 0
		.amdhsa_exception_fp_denorm_src 0
		.amdhsa_exception_fp_ieee_div_zero 0
		.amdhsa_exception_fp_ieee_overflow 0
		.amdhsa_exception_fp_ieee_underflow 0
		.amdhsa_exception_fp_ieee_inexact 0
		.amdhsa_exception_int_div_zero 0
	.end_amdhsa_kernel
	.section	.text._Z17warp_store_kernelILj1024ELj5ELj32ELN7rocprim17ROCPRIM_304000_NS17warp_store_methodE3EiEvPT3_S4_,"axG",@progbits,_Z17warp_store_kernelILj1024ELj5ELj32ELN7rocprim17ROCPRIM_304000_NS17warp_store_methodE3EiEvPT3_S4_,comdat
.Lfunc_end28:
	.size	_Z17warp_store_kernelILj1024ELj5ELj32ELN7rocprim17ROCPRIM_304000_NS17warp_store_methodE3EiEvPT3_S4_, .Lfunc_end28-_Z17warp_store_kernelILj1024ELj5ELj32ELN7rocprim17ROCPRIM_304000_NS17warp_store_methodE3EiEvPT3_S4_
                                        ; -- End function
	.set _Z17warp_store_kernelILj1024ELj5ELj32ELN7rocprim17ROCPRIM_304000_NS17warp_store_methodE3EiEvPT3_S4_.num_vgpr, 10
	.set _Z17warp_store_kernelILj1024ELj5ELj32ELN7rocprim17ROCPRIM_304000_NS17warp_store_methodE3EiEvPT3_S4_.num_agpr, 0
	.set _Z17warp_store_kernelILj1024ELj5ELj32ELN7rocprim17ROCPRIM_304000_NS17warp_store_methodE3EiEvPT3_S4_.numbered_sgpr, 6
	.set _Z17warp_store_kernelILj1024ELj5ELj32ELN7rocprim17ROCPRIM_304000_NS17warp_store_methodE3EiEvPT3_S4_.num_named_barrier, 0
	.set _Z17warp_store_kernelILj1024ELj5ELj32ELN7rocprim17ROCPRIM_304000_NS17warp_store_methodE3EiEvPT3_S4_.private_seg_size, 0
	.set _Z17warp_store_kernelILj1024ELj5ELj32ELN7rocprim17ROCPRIM_304000_NS17warp_store_methodE3EiEvPT3_S4_.uses_vcc, 1
	.set _Z17warp_store_kernelILj1024ELj5ELj32ELN7rocprim17ROCPRIM_304000_NS17warp_store_methodE3EiEvPT3_S4_.uses_flat_scratch, 0
	.set _Z17warp_store_kernelILj1024ELj5ELj32ELN7rocprim17ROCPRIM_304000_NS17warp_store_methodE3EiEvPT3_S4_.has_dyn_sized_stack, 0
	.set _Z17warp_store_kernelILj1024ELj5ELj32ELN7rocprim17ROCPRIM_304000_NS17warp_store_methodE3EiEvPT3_S4_.has_recursion, 0
	.set _Z17warp_store_kernelILj1024ELj5ELj32ELN7rocprim17ROCPRIM_304000_NS17warp_store_methodE3EiEvPT3_S4_.has_indirect_call, 0
	.section	.AMDGPU.csdata,"",@progbits
; Kernel info:
; codeLenInByte = 232
; TotalNumSgprs: 10
; NumVgprs: 10
; ScratchSize: 0
; MemoryBound: 0
; FloatMode: 240
; IeeeMode: 1
; LDSByteSize: 20480 bytes/workgroup (compile time only)
; SGPRBlocks: 8
; VGPRBlocks: 7
; NumSGPRsForWavesPerEU: 65
; NumVGPRsForWavesPerEU: 29
; Occupancy: 8
; WaveLimiterHint : 1
; COMPUTE_PGM_RSRC2:SCRATCH_EN: 0
; COMPUTE_PGM_RSRC2:USER_SGPR: 6
; COMPUTE_PGM_RSRC2:TRAP_HANDLER: 0
; COMPUTE_PGM_RSRC2:TGID_X_EN: 1
; COMPUTE_PGM_RSRC2:TGID_Y_EN: 0
; COMPUTE_PGM_RSRC2:TGID_Z_EN: 0
; COMPUTE_PGM_RSRC2:TIDIG_COMP_CNT: 0
	.section	.text._Z17warp_store_kernelILj1024ELj5ELj32ELN7rocprim17ROCPRIM_304000_NS17warp_store_methodE2EiEvPT3_S4_,"axG",@progbits,_Z17warp_store_kernelILj1024ELj5ELj32ELN7rocprim17ROCPRIM_304000_NS17warp_store_methodE2EiEvPT3_S4_,comdat
	.protected	_Z17warp_store_kernelILj1024ELj5ELj32ELN7rocprim17ROCPRIM_304000_NS17warp_store_methodE2EiEvPT3_S4_ ; -- Begin function _Z17warp_store_kernelILj1024ELj5ELj32ELN7rocprim17ROCPRIM_304000_NS17warp_store_methodE2EiEvPT3_S4_
	.globl	_Z17warp_store_kernelILj1024ELj5ELj32ELN7rocprim17ROCPRIM_304000_NS17warp_store_methodE2EiEvPT3_S4_
	.p2align	8
	.type	_Z17warp_store_kernelILj1024ELj5ELj32ELN7rocprim17ROCPRIM_304000_NS17warp_store_methodE2EiEvPT3_S4_,@function
_Z17warp_store_kernelILj1024ELj5ELj32ELN7rocprim17ROCPRIM_304000_NS17warp_store_methodE2EiEvPT3_S4_: ; @_Z17warp_store_kernelILj1024ELj5ELj32ELN7rocprim17ROCPRIM_304000_NS17warp_store_methodE2EiEvPT3_S4_
; %bb.0:
	s_load_dwordx4 s[0:3], s[4:5], 0x0
	v_mul_u32_u24_e32 v1, 5, v0
	v_lshlrev_b32_e32 v5, 2, v1
	v_lshrrev_b32_e32 v0, 5, v0
	v_mul_u32_u24_e32 v0, 0xa0, v0
	s_waitcnt lgkmcnt(0)
	global_load_dwordx4 v[1:4], v5, s[0:1]
	global_load_dword v7, v5, s[0:1] offset:16
	v_mbcnt_lo_u32_b32 v5, -1, 0
	v_mbcnt_hi_u32_b32 v5, -1, v5
	v_and_b32_e32 v5, 31, v5
	v_lshlrev_b32_e32 v0, 2, v0
	v_mul_u32_u24_e32 v5, 5, v5
	v_mov_b32_e32 v6, s3
	v_add_co_u32_e32 v0, vcc, s2, v0
	v_lshlrev_b32_e32 v5, 2, v5
	v_addc_co_u32_e32 v6, vcc, 0, v6, vcc
	v_add_co_u32_e32 v5, vcc, v0, v5
	v_addc_co_u32_e32 v6, vcc, 0, v6, vcc
	s_waitcnt vmcnt(1)
	global_store_dwordx4 v[5:6], v[1:4], off
	s_waitcnt vmcnt(1)
	global_store_dword v[5:6], v7, off offset:16
	s_endpgm
	.section	.rodata,"a",@progbits
	.p2align	6, 0x0
	.amdhsa_kernel _Z17warp_store_kernelILj1024ELj5ELj32ELN7rocprim17ROCPRIM_304000_NS17warp_store_methodE2EiEvPT3_S4_
		.amdhsa_group_segment_fixed_size 0
		.amdhsa_private_segment_fixed_size 0
		.amdhsa_kernarg_size 16
		.amdhsa_user_sgpr_count 6
		.amdhsa_user_sgpr_private_segment_buffer 1
		.amdhsa_user_sgpr_dispatch_ptr 0
		.amdhsa_user_sgpr_queue_ptr 0
		.amdhsa_user_sgpr_kernarg_segment_ptr 1
		.amdhsa_user_sgpr_dispatch_id 0
		.amdhsa_user_sgpr_flat_scratch_init 0
		.amdhsa_user_sgpr_private_segment_size 0
		.amdhsa_uses_dynamic_stack 0
		.amdhsa_system_sgpr_private_segment_wavefront_offset 0
		.amdhsa_system_sgpr_workgroup_id_x 1
		.amdhsa_system_sgpr_workgroup_id_y 0
		.amdhsa_system_sgpr_workgroup_id_z 0
		.amdhsa_system_sgpr_workgroup_info 0
		.amdhsa_system_vgpr_workitem_id 0
		.amdhsa_next_free_vgpr 8
		.amdhsa_next_free_sgpr 6
		.amdhsa_reserve_vcc 1
		.amdhsa_reserve_flat_scratch 0
		.amdhsa_float_round_mode_32 0
		.amdhsa_float_round_mode_16_64 0
		.amdhsa_float_denorm_mode_32 3
		.amdhsa_float_denorm_mode_16_64 3
		.amdhsa_dx10_clamp 1
		.amdhsa_ieee_mode 1
		.amdhsa_fp16_overflow 0
		.amdhsa_exception_fp_ieee_invalid_op 0
		.amdhsa_exception_fp_denorm_src 0
		.amdhsa_exception_fp_ieee_div_zero 0
		.amdhsa_exception_fp_ieee_overflow 0
		.amdhsa_exception_fp_ieee_underflow 0
		.amdhsa_exception_fp_ieee_inexact 0
		.amdhsa_exception_int_div_zero 0
	.end_amdhsa_kernel
	.section	.text._Z17warp_store_kernelILj1024ELj5ELj32ELN7rocprim17ROCPRIM_304000_NS17warp_store_methodE2EiEvPT3_S4_,"axG",@progbits,_Z17warp_store_kernelILj1024ELj5ELj32ELN7rocprim17ROCPRIM_304000_NS17warp_store_methodE2EiEvPT3_S4_,comdat
.Lfunc_end29:
	.size	_Z17warp_store_kernelILj1024ELj5ELj32ELN7rocprim17ROCPRIM_304000_NS17warp_store_methodE2EiEvPT3_S4_, .Lfunc_end29-_Z17warp_store_kernelILj1024ELj5ELj32ELN7rocprim17ROCPRIM_304000_NS17warp_store_methodE2EiEvPT3_S4_
                                        ; -- End function
	.set _Z17warp_store_kernelILj1024ELj5ELj32ELN7rocprim17ROCPRIM_304000_NS17warp_store_methodE2EiEvPT3_S4_.num_vgpr, 8
	.set _Z17warp_store_kernelILj1024ELj5ELj32ELN7rocprim17ROCPRIM_304000_NS17warp_store_methodE2EiEvPT3_S4_.num_agpr, 0
	.set _Z17warp_store_kernelILj1024ELj5ELj32ELN7rocprim17ROCPRIM_304000_NS17warp_store_methodE2EiEvPT3_S4_.numbered_sgpr, 6
	.set _Z17warp_store_kernelILj1024ELj5ELj32ELN7rocprim17ROCPRIM_304000_NS17warp_store_methodE2EiEvPT3_S4_.num_named_barrier, 0
	.set _Z17warp_store_kernelILj1024ELj5ELj32ELN7rocprim17ROCPRIM_304000_NS17warp_store_methodE2EiEvPT3_S4_.private_seg_size, 0
	.set _Z17warp_store_kernelILj1024ELj5ELj32ELN7rocprim17ROCPRIM_304000_NS17warp_store_methodE2EiEvPT3_S4_.uses_vcc, 1
	.set _Z17warp_store_kernelILj1024ELj5ELj32ELN7rocprim17ROCPRIM_304000_NS17warp_store_methodE2EiEvPT3_S4_.uses_flat_scratch, 0
	.set _Z17warp_store_kernelILj1024ELj5ELj32ELN7rocprim17ROCPRIM_304000_NS17warp_store_methodE2EiEvPT3_S4_.has_dyn_sized_stack, 0
	.set _Z17warp_store_kernelILj1024ELj5ELj32ELN7rocprim17ROCPRIM_304000_NS17warp_store_methodE2EiEvPT3_S4_.has_recursion, 0
	.set _Z17warp_store_kernelILj1024ELj5ELj32ELN7rocprim17ROCPRIM_304000_NS17warp_store_methodE2EiEvPT3_S4_.has_indirect_call, 0
	.section	.AMDGPU.csdata,"",@progbits
; Kernel info:
; codeLenInByte = 128
; TotalNumSgprs: 10
; NumVgprs: 8
; ScratchSize: 0
; MemoryBound: 0
; FloatMode: 240
; IeeeMode: 1
; LDSByteSize: 0 bytes/workgroup (compile time only)
; SGPRBlocks: 1
; VGPRBlocks: 1
; NumSGPRsForWavesPerEU: 10
; NumVGPRsForWavesPerEU: 8
; Occupancy: 10
; WaveLimiterHint : 0
; COMPUTE_PGM_RSRC2:SCRATCH_EN: 0
; COMPUTE_PGM_RSRC2:USER_SGPR: 6
; COMPUTE_PGM_RSRC2:TRAP_HANDLER: 0
; COMPUTE_PGM_RSRC2:TGID_X_EN: 1
; COMPUTE_PGM_RSRC2:TGID_Y_EN: 0
; COMPUTE_PGM_RSRC2:TGID_Z_EN: 0
; COMPUTE_PGM_RSRC2:TIDIG_COMP_CNT: 0
	.section	.text._Z17warp_store_kernelILj1024ELj5ELj32ELN7rocprim17ROCPRIM_304000_NS17warp_store_methodE1EiEvPT3_S4_,"axG",@progbits,_Z17warp_store_kernelILj1024ELj5ELj32ELN7rocprim17ROCPRIM_304000_NS17warp_store_methodE1EiEvPT3_S4_,comdat
	.protected	_Z17warp_store_kernelILj1024ELj5ELj32ELN7rocprim17ROCPRIM_304000_NS17warp_store_methodE1EiEvPT3_S4_ ; -- Begin function _Z17warp_store_kernelILj1024ELj5ELj32ELN7rocprim17ROCPRIM_304000_NS17warp_store_methodE1EiEvPT3_S4_
	.globl	_Z17warp_store_kernelILj1024ELj5ELj32ELN7rocprim17ROCPRIM_304000_NS17warp_store_methodE1EiEvPT3_S4_
	.p2align	8
	.type	_Z17warp_store_kernelILj1024ELj5ELj32ELN7rocprim17ROCPRIM_304000_NS17warp_store_methodE1EiEvPT3_S4_,@function
_Z17warp_store_kernelILj1024ELj5ELj32ELN7rocprim17ROCPRIM_304000_NS17warp_store_methodE1EiEvPT3_S4_: ; @_Z17warp_store_kernelILj1024ELj5ELj32ELN7rocprim17ROCPRIM_304000_NS17warp_store_methodE1EiEvPT3_S4_
; %bb.0:
	s_load_dwordx4 s[0:3], s[4:5], 0x0
	v_mul_u32_u24_e32 v1, 5, v0
	v_lshlrev_b32_e32 v5, 2, v1
	v_lshrrev_b32_e32 v0, 5, v0
	v_mul_u32_u24_e32 v0, 0xa0, v0
	s_waitcnt lgkmcnt(0)
	global_load_dwordx4 v[1:4], v5, s[0:1]
	global_load_dword v7, v5, s[0:1] offset:16
	v_mbcnt_lo_u32_b32 v5, -1, 0
	v_mbcnt_hi_u32_b32 v5, -1, v5
	v_lshlrev_b32_e32 v0, 2, v0
	v_and_b32_e32 v5, 31, v5
	v_mov_b32_e32 v6, s3
	v_add_co_u32_e32 v0, vcc, s2, v0
	v_lshlrev_b32_e32 v5, 2, v5
	v_addc_co_u32_e32 v6, vcc, 0, v6, vcc
	v_add_co_u32_e32 v5, vcc, v0, v5
	v_addc_co_u32_e32 v6, vcc, 0, v6, vcc
	s_waitcnt vmcnt(1)
	global_store_dword v[5:6], v1, off
	global_store_dword v[5:6], v2, off offset:128
	global_store_dword v[5:6], v3, off offset:256
	;; [unrolled: 1-line block ×3, first 2 shown]
	s_waitcnt vmcnt(4)
	global_store_dword v[5:6], v7, off offset:512
	s_endpgm
	.section	.rodata,"a",@progbits
	.p2align	6, 0x0
	.amdhsa_kernel _Z17warp_store_kernelILj1024ELj5ELj32ELN7rocprim17ROCPRIM_304000_NS17warp_store_methodE1EiEvPT3_S4_
		.amdhsa_group_segment_fixed_size 0
		.amdhsa_private_segment_fixed_size 0
		.amdhsa_kernarg_size 16
		.amdhsa_user_sgpr_count 6
		.amdhsa_user_sgpr_private_segment_buffer 1
		.amdhsa_user_sgpr_dispatch_ptr 0
		.amdhsa_user_sgpr_queue_ptr 0
		.amdhsa_user_sgpr_kernarg_segment_ptr 1
		.amdhsa_user_sgpr_dispatch_id 0
		.amdhsa_user_sgpr_flat_scratch_init 0
		.amdhsa_user_sgpr_private_segment_size 0
		.amdhsa_uses_dynamic_stack 0
		.amdhsa_system_sgpr_private_segment_wavefront_offset 0
		.amdhsa_system_sgpr_workgroup_id_x 1
		.amdhsa_system_sgpr_workgroup_id_y 0
		.amdhsa_system_sgpr_workgroup_id_z 0
		.amdhsa_system_sgpr_workgroup_info 0
		.amdhsa_system_vgpr_workitem_id 0
		.amdhsa_next_free_vgpr 8
		.amdhsa_next_free_sgpr 6
		.amdhsa_reserve_vcc 1
		.amdhsa_reserve_flat_scratch 0
		.amdhsa_float_round_mode_32 0
		.amdhsa_float_round_mode_16_64 0
		.amdhsa_float_denorm_mode_32 3
		.amdhsa_float_denorm_mode_16_64 3
		.amdhsa_dx10_clamp 1
		.amdhsa_ieee_mode 1
		.amdhsa_fp16_overflow 0
		.amdhsa_exception_fp_ieee_invalid_op 0
		.amdhsa_exception_fp_denorm_src 0
		.amdhsa_exception_fp_ieee_div_zero 0
		.amdhsa_exception_fp_ieee_overflow 0
		.amdhsa_exception_fp_ieee_underflow 0
		.amdhsa_exception_fp_ieee_inexact 0
		.amdhsa_exception_int_div_zero 0
	.end_amdhsa_kernel
	.section	.text._Z17warp_store_kernelILj1024ELj5ELj32ELN7rocprim17ROCPRIM_304000_NS17warp_store_methodE1EiEvPT3_S4_,"axG",@progbits,_Z17warp_store_kernelILj1024ELj5ELj32ELN7rocprim17ROCPRIM_304000_NS17warp_store_methodE1EiEvPT3_S4_,comdat
.Lfunc_end30:
	.size	_Z17warp_store_kernelILj1024ELj5ELj32ELN7rocprim17ROCPRIM_304000_NS17warp_store_methodE1EiEvPT3_S4_, .Lfunc_end30-_Z17warp_store_kernelILj1024ELj5ELj32ELN7rocprim17ROCPRIM_304000_NS17warp_store_methodE1EiEvPT3_S4_
                                        ; -- End function
	.set _Z17warp_store_kernelILj1024ELj5ELj32ELN7rocprim17ROCPRIM_304000_NS17warp_store_methodE1EiEvPT3_S4_.num_vgpr, 8
	.set _Z17warp_store_kernelILj1024ELj5ELj32ELN7rocprim17ROCPRIM_304000_NS17warp_store_methodE1EiEvPT3_S4_.num_agpr, 0
	.set _Z17warp_store_kernelILj1024ELj5ELj32ELN7rocprim17ROCPRIM_304000_NS17warp_store_methodE1EiEvPT3_S4_.numbered_sgpr, 6
	.set _Z17warp_store_kernelILj1024ELj5ELj32ELN7rocprim17ROCPRIM_304000_NS17warp_store_methodE1EiEvPT3_S4_.num_named_barrier, 0
	.set _Z17warp_store_kernelILj1024ELj5ELj32ELN7rocprim17ROCPRIM_304000_NS17warp_store_methodE1EiEvPT3_S4_.private_seg_size, 0
	.set _Z17warp_store_kernelILj1024ELj5ELj32ELN7rocprim17ROCPRIM_304000_NS17warp_store_methodE1EiEvPT3_S4_.uses_vcc, 1
	.set _Z17warp_store_kernelILj1024ELj5ELj32ELN7rocprim17ROCPRIM_304000_NS17warp_store_methodE1EiEvPT3_S4_.uses_flat_scratch, 0
	.set _Z17warp_store_kernelILj1024ELj5ELj32ELN7rocprim17ROCPRIM_304000_NS17warp_store_methodE1EiEvPT3_S4_.has_dyn_sized_stack, 0
	.set _Z17warp_store_kernelILj1024ELj5ELj32ELN7rocprim17ROCPRIM_304000_NS17warp_store_methodE1EiEvPT3_S4_.has_recursion, 0
	.set _Z17warp_store_kernelILj1024ELj5ELj32ELN7rocprim17ROCPRIM_304000_NS17warp_store_methodE1EiEvPT3_S4_.has_indirect_call, 0
	.section	.AMDGPU.csdata,"",@progbits
; Kernel info:
; codeLenInByte = 148
; TotalNumSgprs: 10
; NumVgprs: 8
; ScratchSize: 0
; MemoryBound: 0
; FloatMode: 240
; IeeeMode: 1
; LDSByteSize: 0 bytes/workgroup (compile time only)
; SGPRBlocks: 1
; VGPRBlocks: 1
; NumSGPRsForWavesPerEU: 10
; NumVGPRsForWavesPerEU: 8
; Occupancy: 10
; WaveLimiterHint : 1
; COMPUTE_PGM_RSRC2:SCRATCH_EN: 0
; COMPUTE_PGM_RSRC2:USER_SGPR: 6
; COMPUTE_PGM_RSRC2:TRAP_HANDLER: 0
; COMPUTE_PGM_RSRC2:TGID_X_EN: 1
; COMPUTE_PGM_RSRC2:TGID_Y_EN: 0
; COMPUTE_PGM_RSRC2:TGID_Z_EN: 0
; COMPUTE_PGM_RSRC2:TIDIG_COMP_CNT: 0
	.section	.text._Z17warp_store_kernelILj1024ELj5ELj32ELN7rocprim17ROCPRIM_304000_NS17warp_store_methodE0EiEvPT3_S4_,"axG",@progbits,_Z17warp_store_kernelILj1024ELj5ELj32ELN7rocprim17ROCPRIM_304000_NS17warp_store_methodE0EiEvPT3_S4_,comdat
	.protected	_Z17warp_store_kernelILj1024ELj5ELj32ELN7rocprim17ROCPRIM_304000_NS17warp_store_methodE0EiEvPT3_S4_ ; -- Begin function _Z17warp_store_kernelILj1024ELj5ELj32ELN7rocprim17ROCPRIM_304000_NS17warp_store_methodE0EiEvPT3_S4_
	.globl	_Z17warp_store_kernelILj1024ELj5ELj32ELN7rocprim17ROCPRIM_304000_NS17warp_store_methodE0EiEvPT3_S4_
	.p2align	8
	.type	_Z17warp_store_kernelILj1024ELj5ELj32ELN7rocprim17ROCPRIM_304000_NS17warp_store_methodE0EiEvPT3_S4_,@function
_Z17warp_store_kernelILj1024ELj5ELj32ELN7rocprim17ROCPRIM_304000_NS17warp_store_methodE0EiEvPT3_S4_: ; @_Z17warp_store_kernelILj1024ELj5ELj32ELN7rocprim17ROCPRIM_304000_NS17warp_store_methodE0EiEvPT3_S4_
; %bb.0:
	s_load_dwordx4 s[0:3], s[4:5], 0x0
	v_mul_u32_u24_e32 v1, 5, v0
	v_lshlrev_b32_e32 v5, 2, v1
	v_lshrrev_b32_e32 v0, 5, v0
	v_mul_u32_u24_e32 v0, 0xa0, v0
	s_waitcnt lgkmcnt(0)
	global_load_dwordx4 v[1:4], v5, s[0:1]
	global_load_dword v7, v5, s[0:1] offset:16
	v_mbcnt_lo_u32_b32 v5, -1, 0
	v_mbcnt_hi_u32_b32 v5, -1, v5
	v_and_b32_e32 v5, 31, v5
	v_lshlrev_b32_e32 v0, 2, v0
	v_mul_u32_u24_e32 v5, 5, v5
	v_mov_b32_e32 v6, s3
	v_add_co_u32_e32 v0, vcc, s2, v0
	v_lshlrev_b32_e32 v5, 2, v5
	v_addc_co_u32_e32 v6, vcc, 0, v6, vcc
	v_add_co_u32_e32 v5, vcc, v0, v5
	v_addc_co_u32_e32 v6, vcc, 0, v6, vcc
	s_waitcnt vmcnt(1)
	global_store_dwordx4 v[5:6], v[1:4], off
	s_waitcnt vmcnt(1)
	global_store_dword v[5:6], v7, off offset:16
	s_endpgm
	.section	.rodata,"a",@progbits
	.p2align	6, 0x0
	.amdhsa_kernel _Z17warp_store_kernelILj1024ELj5ELj32ELN7rocprim17ROCPRIM_304000_NS17warp_store_methodE0EiEvPT3_S4_
		.amdhsa_group_segment_fixed_size 0
		.amdhsa_private_segment_fixed_size 0
		.amdhsa_kernarg_size 16
		.amdhsa_user_sgpr_count 6
		.amdhsa_user_sgpr_private_segment_buffer 1
		.amdhsa_user_sgpr_dispatch_ptr 0
		.amdhsa_user_sgpr_queue_ptr 0
		.amdhsa_user_sgpr_kernarg_segment_ptr 1
		.amdhsa_user_sgpr_dispatch_id 0
		.amdhsa_user_sgpr_flat_scratch_init 0
		.amdhsa_user_sgpr_private_segment_size 0
		.amdhsa_uses_dynamic_stack 0
		.amdhsa_system_sgpr_private_segment_wavefront_offset 0
		.amdhsa_system_sgpr_workgroup_id_x 1
		.amdhsa_system_sgpr_workgroup_id_y 0
		.amdhsa_system_sgpr_workgroup_id_z 0
		.amdhsa_system_sgpr_workgroup_info 0
		.amdhsa_system_vgpr_workitem_id 0
		.amdhsa_next_free_vgpr 8
		.amdhsa_next_free_sgpr 6
		.amdhsa_reserve_vcc 1
		.amdhsa_reserve_flat_scratch 0
		.amdhsa_float_round_mode_32 0
		.amdhsa_float_round_mode_16_64 0
		.amdhsa_float_denorm_mode_32 3
		.amdhsa_float_denorm_mode_16_64 3
		.amdhsa_dx10_clamp 1
		.amdhsa_ieee_mode 1
		.amdhsa_fp16_overflow 0
		.amdhsa_exception_fp_ieee_invalid_op 0
		.amdhsa_exception_fp_denorm_src 0
		.amdhsa_exception_fp_ieee_div_zero 0
		.amdhsa_exception_fp_ieee_overflow 0
		.amdhsa_exception_fp_ieee_underflow 0
		.amdhsa_exception_fp_ieee_inexact 0
		.amdhsa_exception_int_div_zero 0
	.end_amdhsa_kernel
	.section	.text._Z17warp_store_kernelILj1024ELj5ELj32ELN7rocprim17ROCPRIM_304000_NS17warp_store_methodE0EiEvPT3_S4_,"axG",@progbits,_Z17warp_store_kernelILj1024ELj5ELj32ELN7rocprim17ROCPRIM_304000_NS17warp_store_methodE0EiEvPT3_S4_,comdat
.Lfunc_end31:
	.size	_Z17warp_store_kernelILj1024ELj5ELj32ELN7rocprim17ROCPRIM_304000_NS17warp_store_methodE0EiEvPT3_S4_, .Lfunc_end31-_Z17warp_store_kernelILj1024ELj5ELj32ELN7rocprim17ROCPRIM_304000_NS17warp_store_methodE0EiEvPT3_S4_
                                        ; -- End function
	.set _Z17warp_store_kernelILj1024ELj5ELj32ELN7rocprim17ROCPRIM_304000_NS17warp_store_methodE0EiEvPT3_S4_.num_vgpr, 8
	.set _Z17warp_store_kernelILj1024ELj5ELj32ELN7rocprim17ROCPRIM_304000_NS17warp_store_methodE0EiEvPT3_S4_.num_agpr, 0
	.set _Z17warp_store_kernelILj1024ELj5ELj32ELN7rocprim17ROCPRIM_304000_NS17warp_store_methodE0EiEvPT3_S4_.numbered_sgpr, 6
	.set _Z17warp_store_kernelILj1024ELj5ELj32ELN7rocprim17ROCPRIM_304000_NS17warp_store_methodE0EiEvPT3_S4_.num_named_barrier, 0
	.set _Z17warp_store_kernelILj1024ELj5ELj32ELN7rocprim17ROCPRIM_304000_NS17warp_store_methodE0EiEvPT3_S4_.private_seg_size, 0
	.set _Z17warp_store_kernelILj1024ELj5ELj32ELN7rocprim17ROCPRIM_304000_NS17warp_store_methodE0EiEvPT3_S4_.uses_vcc, 1
	.set _Z17warp_store_kernelILj1024ELj5ELj32ELN7rocprim17ROCPRIM_304000_NS17warp_store_methodE0EiEvPT3_S4_.uses_flat_scratch, 0
	.set _Z17warp_store_kernelILj1024ELj5ELj32ELN7rocprim17ROCPRIM_304000_NS17warp_store_methodE0EiEvPT3_S4_.has_dyn_sized_stack, 0
	.set _Z17warp_store_kernelILj1024ELj5ELj32ELN7rocprim17ROCPRIM_304000_NS17warp_store_methodE0EiEvPT3_S4_.has_recursion, 0
	.set _Z17warp_store_kernelILj1024ELj5ELj32ELN7rocprim17ROCPRIM_304000_NS17warp_store_methodE0EiEvPT3_S4_.has_indirect_call, 0
	.section	.AMDGPU.csdata,"",@progbits
; Kernel info:
; codeLenInByte = 128
; TotalNumSgprs: 10
; NumVgprs: 8
; ScratchSize: 0
; MemoryBound: 0
; FloatMode: 240
; IeeeMode: 1
; LDSByteSize: 0 bytes/workgroup (compile time only)
; SGPRBlocks: 1
; VGPRBlocks: 1
; NumSGPRsForWavesPerEU: 10
; NumVGPRsForWavesPerEU: 8
; Occupancy: 10
; WaveLimiterHint : 0
; COMPUTE_PGM_RSRC2:SCRATCH_EN: 0
; COMPUTE_PGM_RSRC2:USER_SGPR: 6
; COMPUTE_PGM_RSRC2:TRAP_HANDLER: 0
; COMPUTE_PGM_RSRC2:TGID_X_EN: 1
; COMPUTE_PGM_RSRC2:TGID_Y_EN: 0
; COMPUTE_PGM_RSRC2:TGID_Z_EN: 0
; COMPUTE_PGM_RSRC2:TIDIG_COMP_CNT: 0
	.section	.text._Z17warp_store_kernelILj1024ELj4ELj32ELN7rocprim17ROCPRIM_304000_NS17warp_store_methodE3EiEvPT3_S4_,"axG",@progbits,_Z17warp_store_kernelILj1024ELj4ELj32ELN7rocprim17ROCPRIM_304000_NS17warp_store_methodE3EiEvPT3_S4_,comdat
	.protected	_Z17warp_store_kernelILj1024ELj4ELj32ELN7rocprim17ROCPRIM_304000_NS17warp_store_methodE3EiEvPT3_S4_ ; -- Begin function _Z17warp_store_kernelILj1024ELj4ELj32ELN7rocprim17ROCPRIM_304000_NS17warp_store_methodE3EiEvPT3_S4_
	.globl	_Z17warp_store_kernelILj1024ELj4ELj32ELN7rocprim17ROCPRIM_304000_NS17warp_store_methodE3EiEvPT3_S4_
	.p2align	8
	.type	_Z17warp_store_kernelILj1024ELj4ELj32ELN7rocprim17ROCPRIM_304000_NS17warp_store_methodE3EiEvPT3_S4_,@function
_Z17warp_store_kernelILj1024ELj4ELj32ELN7rocprim17ROCPRIM_304000_NS17warp_store_methodE3EiEvPT3_S4_: ; @_Z17warp_store_kernelILj1024ELj4ELj32ELN7rocprim17ROCPRIM_304000_NS17warp_store_methodE3EiEvPT3_S4_
; %bb.0:
	s_load_dwordx4 s[0:3], s[4:5], 0x0
	v_lshlrev_b32_e32 v4, 4, v0
	v_mbcnt_lo_u32_b32 v5, -1, 0
	v_mbcnt_hi_u32_b32 v5, -1, v5
	v_and_b32_e32 v5, 31, v5
	s_waitcnt lgkmcnt(0)
	global_load_dwordx4 v[0:3], v4, s[0:1]
	v_and_b32_e32 v4, 0x3e00, v4
	v_lshl_or_b32 v6, v5, 4, v4
	v_lshlrev_b32_e32 v7, 2, v5
	v_mad_i32_i24 v5, v5, -12, v6
	v_mov_b32_e32 v8, s3
	v_add_co_u32_e32 v4, vcc, s2, v4
	v_addc_co_u32_e32 v8, vcc, 0, v8, vcc
	v_add_co_u32_e32 v4, vcc, v4, v7
	s_waitcnt vmcnt(0)
	ds_write_b128 v6, v[0:3]
	; wave barrier
	ds_read2_b32 v[0:1], v5 offset1:32
	ds_read2_b32 v[2:3], v5 offset0:64 offset1:96
	v_addc_co_u32_e32 v5, vcc, 0, v8, vcc
	s_waitcnt lgkmcnt(1)
	global_store_dword v[4:5], v0, off
	global_store_dword v[4:5], v1, off offset:128
	s_waitcnt lgkmcnt(0)
	global_store_dword v[4:5], v2, off offset:256
	global_store_dword v[4:5], v3, off offset:384
	s_endpgm
	.section	.rodata,"a",@progbits
	.p2align	6, 0x0
	.amdhsa_kernel _Z17warp_store_kernelILj1024ELj4ELj32ELN7rocprim17ROCPRIM_304000_NS17warp_store_methodE3EiEvPT3_S4_
		.amdhsa_group_segment_fixed_size 16384
		.amdhsa_private_segment_fixed_size 0
		.amdhsa_kernarg_size 16
		.amdhsa_user_sgpr_count 6
		.amdhsa_user_sgpr_private_segment_buffer 1
		.amdhsa_user_sgpr_dispatch_ptr 0
		.amdhsa_user_sgpr_queue_ptr 0
		.amdhsa_user_sgpr_kernarg_segment_ptr 1
		.amdhsa_user_sgpr_dispatch_id 0
		.amdhsa_user_sgpr_flat_scratch_init 0
		.amdhsa_user_sgpr_private_segment_size 0
		.amdhsa_uses_dynamic_stack 0
		.amdhsa_system_sgpr_private_segment_wavefront_offset 0
		.amdhsa_system_sgpr_workgroup_id_x 1
		.amdhsa_system_sgpr_workgroup_id_y 0
		.amdhsa_system_sgpr_workgroup_id_z 0
		.amdhsa_system_sgpr_workgroup_info 0
		.amdhsa_system_vgpr_workitem_id 0
		.amdhsa_next_free_vgpr 29
		.amdhsa_next_free_sgpr 61
		.amdhsa_reserve_vcc 1
		.amdhsa_reserve_flat_scratch 0
		.amdhsa_float_round_mode_32 0
		.amdhsa_float_round_mode_16_64 0
		.amdhsa_float_denorm_mode_32 3
		.amdhsa_float_denorm_mode_16_64 3
		.amdhsa_dx10_clamp 1
		.amdhsa_ieee_mode 1
		.amdhsa_fp16_overflow 0
		.amdhsa_exception_fp_ieee_invalid_op 0
		.amdhsa_exception_fp_denorm_src 0
		.amdhsa_exception_fp_ieee_div_zero 0
		.amdhsa_exception_fp_ieee_overflow 0
		.amdhsa_exception_fp_ieee_underflow 0
		.amdhsa_exception_fp_ieee_inexact 0
		.amdhsa_exception_int_div_zero 0
	.end_amdhsa_kernel
	.section	.text._Z17warp_store_kernelILj1024ELj4ELj32ELN7rocprim17ROCPRIM_304000_NS17warp_store_methodE3EiEvPT3_S4_,"axG",@progbits,_Z17warp_store_kernelILj1024ELj4ELj32ELN7rocprim17ROCPRIM_304000_NS17warp_store_methodE3EiEvPT3_S4_,comdat
.Lfunc_end32:
	.size	_Z17warp_store_kernelILj1024ELj4ELj32ELN7rocprim17ROCPRIM_304000_NS17warp_store_methodE3EiEvPT3_S4_, .Lfunc_end32-_Z17warp_store_kernelILj1024ELj4ELj32ELN7rocprim17ROCPRIM_304000_NS17warp_store_methodE3EiEvPT3_S4_
                                        ; -- End function
	.set _Z17warp_store_kernelILj1024ELj4ELj32ELN7rocprim17ROCPRIM_304000_NS17warp_store_methodE3EiEvPT3_S4_.num_vgpr, 9
	.set _Z17warp_store_kernelILj1024ELj4ELj32ELN7rocprim17ROCPRIM_304000_NS17warp_store_methodE3EiEvPT3_S4_.num_agpr, 0
	.set _Z17warp_store_kernelILj1024ELj4ELj32ELN7rocprim17ROCPRIM_304000_NS17warp_store_methodE3EiEvPT3_S4_.numbered_sgpr, 6
	.set _Z17warp_store_kernelILj1024ELj4ELj32ELN7rocprim17ROCPRIM_304000_NS17warp_store_methodE3EiEvPT3_S4_.num_named_barrier, 0
	.set _Z17warp_store_kernelILj1024ELj4ELj32ELN7rocprim17ROCPRIM_304000_NS17warp_store_methodE3EiEvPT3_S4_.private_seg_size, 0
	.set _Z17warp_store_kernelILj1024ELj4ELj32ELN7rocprim17ROCPRIM_304000_NS17warp_store_methodE3EiEvPT3_S4_.uses_vcc, 1
	.set _Z17warp_store_kernelILj1024ELj4ELj32ELN7rocprim17ROCPRIM_304000_NS17warp_store_methodE3EiEvPT3_S4_.uses_flat_scratch, 0
	.set _Z17warp_store_kernelILj1024ELj4ELj32ELN7rocprim17ROCPRIM_304000_NS17warp_store_methodE3EiEvPT3_S4_.has_dyn_sized_stack, 0
	.set _Z17warp_store_kernelILj1024ELj4ELj32ELN7rocprim17ROCPRIM_304000_NS17warp_store_methodE3EiEvPT3_S4_.has_recursion, 0
	.set _Z17warp_store_kernelILj1024ELj4ELj32ELN7rocprim17ROCPRIM_304000_NS17warp_store_methodE3EiEvPT3_S4_.has_indirect_call, 0
	.section	.AMDGPU.csdata,"",@progbits
; Kernel info:
; codeLenInByte = 164
; TotalNumSgprs: 10
; NumVgprs: 9
; ScratchSize: 0
; MemoryBound: 0
; FloatMode: 240
; IeeeMode: 1
; LDSByteSize: 16384 bytes/workgroup (compile time only)
; SGPRBlocks: 8
; VGPRBlocks: 7
; NumSGPRsForWavesPerEU: 65
; NumVGPRsForWavesPerEU: 29
; Occupancy: 8
; WaveLimiterHint : 1
; COMPUTE_PGM_RSRC2:SCRATCH_EN: 0
; COMPUTE_PGM_RSRC2:USER_SGPR: 6
; COMPUTE_PGM_RSRC2:TRAP_HANDLER: 0
; COMPUTE_PGM_RSRC2:TGID_X_EN: 1
; COMPUTE_PGM_RSRC2:TGID_Y_EN: 0
; COMPUTE_PGM_RSRC2:TGID_Z_EN: 0
; COMPUTE_PGM_RSRC2:TIDIG_COMP_CNT: 0
	.section	.text._Z17warp_store_kernelILj1024ELj4ELj32ELN7rocprim17ROCPRIM_304000_NS17warp_store_methodE2EiEvPT3_S4_,"axG",@progbits,_Z17warp_store_kernelILj1024ELj4ELj32ELN7rocprim17ROCPRIM_304000_NS17warp_store_methodE2EiEvPT3_S4_,comdat
	.protected	_Z17warp_store_kernelILj1024ELj4ELj32ELN7rocprim17ROCPRIM_304000_NS17warp_store_methodE2EiEvPT3_S4_ ; -- Begin function _Z17warp_store_kernelILj1024ELj4ELj32ELN7rocprim17ROCPRIM_304000_NS17warp_store_methodE2EiEvPT3_S4_
	.globl	_Z17warp_store_kernelILj1024ELj4ELj32ELN7rocprim17ROCPRIM_304000_NS17warp_store_methodE2EiEvPT3_S4_
	.p2align	8
	.type	_Z17warp_store_kernelILj1024ELj4ELj32ELN7rocprim17ROCPRIM_304000_NS17warp_store_methodE2EiEvPT3_S4_,@function
_Z17warp_store_kernelILj1024ELj4ELj32ELN7rocprim17ROCPRIM_304000_NS17warp_store_methodE2EiEvPT3_S4_: ; @_Z17warp_store_kernelILj1024ELj4ELj32ELN7rocprim17ROCPRIM_304000_NS17warp_store_methodE2EiEvPT3_S4_
; %bb.0:
	s_load_dwordx4 s[0:3], s[4:5], 0x0
	v_lshlrev_b32_e32 v4, 4, v0
	v_mbcnt_lo_u32_b32 v6, -1, 0
	v_mbcnt_hi_u32_b32 v6, -1, v6
	v_and_b32_e32 v6, 31, v6
	s_waitcnt lgkmcnt(0)
	global_load_dwordx4 v[0:3], v4, s[0:1]
	v_and_b32_e32 v4, 0x3e00, v4
	v_mov_b32_e32 v5, s3
	v_add_co_u32_e32 v4, vcc, s2, v4
	v_addc_co_u32_e32 v5, vcc, 0, v5, vcc
	v_lshlrev_b32_e32 v6, 4, v6
	v_add_co_u32_e32 v4, vcc, v4, v6
	v_addc_co_u32_e32 v5, vcc, 0, v5, vcc
	s_waitcnt vmcnt(0)
	global_store_dwordx4 v[4:5], v[0:3], off
	s_endpgm
	.section	.rodata,"a",@progbits
	.p2align	6, 0x0
	.amdhsa_kernel _Z17warp_store_kernelILj1024ELj4ELj32ELN7rocprim17ROCPRIM_304000_NS17warp_store_methodE2EiEvPT3_S4_
		.amdhsa_group_segment_fixed_size 0
		.amdhsa_private_segment_fixed_size 0
		.amdhsa_kernarg_size 16
		.amdhsa_user_sgpr_count 6
		.amdhsa_user_sgpr_private_segment_buffer 1
		.amdhsa_user_sgpr_dispatch_ptr 0
		.amdhsa_user_sgpr_queue_ptr 0
		.amdhsa_user_sgpr_kernarg_segment_ptr 1
		.amdhsa_user_sgpr_dispatch_id 0
		.amdhsa_user_sgpr_flat_scratch_init 0
		.amdhsa_user_sgpr_private_segment_size 0
		.amdhsa_uses_dynamic_stack 0
		.amdhsa_system_sgpr_private_segment_wavefront_offset 0
		.amdhsa_system_sgpr_workgroup_id_x 1
		.amdhsa_system_sgpr_workgroup_id_y 0
		.amdhsa_system_sgpr_workgroup_id_z 0
		.amdhsa_system_sgpr_workgroup_info 0
		.amdhsa_system_vgpr_workitem_id 0
		.amdhsa_next_free_vgpr 7
		.amdhsa_next_free_sgpr 6
		.amdhsa_reserve_vcc 1
		.amdhsa_reserve_flat_scratch 0
		.amdhsa_float_round_mode_32 0
		.amdhsa_float_round_mode_16_64 0
		.amdhsa_float_denorm_mode_32 3
		.amdhsa_float_denorm_mode_16_64 3
		.amdhsa_dx10_clamp 1
		.amdhsa_ieee_mode 1
		.amdhsa_fp16_overflow 0
		.amdhsa_exception_fp_ieee_invalid_op 0
		.amdhsa_exception_fp_denorm_src 0
		.amdhsa_exception_fp_ieee_div_zero 0
		.amdhsa_exception_fp_ieee_overflow 0
		.amdhsa_exception_fp_ieee_underflow 0
		.amdhsa_exception_fp_ieee_inexact 0
		.amdhsa_exception_int_div_zero 0
	.end_amdhsa_kernel
	.section	.text._Z17warp_store_kernelILj1024ELj4ELj32ELN7rocprim17ROCPRIM_304000_NS17warp_store_methodE2EiEvPT3_S4_,"axG",@progbits,_Z17warp_store_kernelILj1024ELj4ELj32ELN7rocprim17ROCPRIM_304000_NS17warp_store_methodE2EiEvPT3_S4_,comdat
.Lfunc_end33:
	.size	_Z17warp_store_kernelILj1024ELj4ELj32ELN7rocprim17ROCPRIM_304000_NS17warp_store_methodE2EiEvPT3_S4_, .Lfunc_end33-_Z17warp_store_kernelILj1024ELj4ELj32ELN7rocprim17ROCPRIM_304000_NS17warp_store_methodE2EiEvPT3_S4_
                                        ; -- End function
	.set _Z17warp_store_kernelILj1024ELj4ELj32ELN7rocprim17ROCPRIM_304000_NS17warp_store_methodE2EiEvPT3_S4_.num_vgpr, 7
	.set _Z17warp_store_kernelILj1024ELj4ELj32ELN7rocprim17ROCPRIM_304000_NS17warp_store_methodE2EiEvPT3_S4_.num_agpr, 0
	.set _Z17warp_store_kernelILj1024ELj4ELj32ELN7rocprim17ROCPRIM_304000_NS17warp_store_methodE2EiEvPT3_S4_.numbered_sgpr, 6
	.set _Z17warp_store_kernelILj1024ELj4ELj32ELN7rocprim17ROCPRIM_304000_NS17warp_store_methodE2EiEvPT3_S4_.num_named_barrier, 0
	.set _Z17warp_store_kernelILj1024ELj4ELj32ELN7rocprim17ROCPRIM_304000_NS17warp_store_methodE2EiEvPT3_S4_.private_seg_size, 0
	.set _Z17warp_store_kernelILj1024ELj4ELj32ELN7rocprim17ROCPRIM_304000_NS17warp_store_methodE2EiEvPT3_S4_.uses_vcc, 1
	.set _Z17warp_store_kernelILj1024ELj4ELj32ELN7rocprim17ROCPRIM_304000_NS17warp_store_methodE2EiEvPT3_S4_.uses_flat_scratch, 0
	.set _Z17warp_store_kernelILj1024ELj4ELj32ELN7rocprim17ROCPRIM_304000_NS17warp_store_methodE2EiEvPT3_S4_.has_dyn_sized_stack, 0
	.set _Z17warp_store_kernelILj1024ELj4ELj32ELN7rocprim17ROCPRIM_304000_NS17warp_store_methodE2EiEvPT3_S4_.has_recursion, 0
	.set _Z17warp_store_kernelILj1024ELj4ELj32ELN7rocprim17ROCPRIM_304000_NS17warp_store_methodE2EiEvPT3_S4_.has_indirect_call, 0
	.section	.AMDGPU.csdata,"",@progbits
; Kernel info:
; codeLenInByte = 92
; TotalNumSgprs: 10
; NumVgprs: 7
; ScratchSize: 0
; MemoryBound: 0
; FloatMode: 240
; IeeeMode: 1
; LDSByteSize: 0 bytes/workgroup (compile time only)
; SGPRBlocks: 1
; VGPRBlocks: 1
; NumSGPRsForWavesPerEU: 10
; NumVGPRsForWavesPerEU: 7
; Occupancy: 10
; WaveLimiterHint : 0
; COMPUTE_PGM_RSRC2:SCRATCH_EN: 0
; COMPUTE_PGM_RSRC2:USER_SGPR: 6
; COMPUTE_PGM_RSRC2:TRAP_HANDLER: 0
; COMPUTE_PGM_RSRC2:TGID_X_EN: 1
; COMPUTE_PGM_RSRC2:TGID_Y_EN: 0
; COMPUTE_PGM_RSRC2:TGID_Z_EN: 0
; COMPUTE_PGM_RSRC2:TIDIG_COMP_CNT: 0
	.section	.text._Z17warp_store_kernelILj1024ELj4ELj32ELN7rocprim17ROCPRIM_304000_NS17warp_store_methodE1EiEvPT3_S4_,"axG",@progbits,_Z17warp_store_kernelILj1024ELj4ELj32ELN7rocprim17ROCPRIM_304000_NS17warp_store_methodE1EiEvPT3_S4_,comdat
	.protected	_Z17warp_store_kernelILj1024ELj4ELj32ELN7rocprim17ROCPRIM_304000_NS17warp_store_methodE1EiEvPT3_S4_ ; -- Begin function _Z17warp_store_kernelILj1024ELj4ELj32ELN7rocprim17ROCPRIM_304000_NS17warp_store_methodE1EiEvPT3_S4_
	.globl	_Z17warp_store_kernelILj1024ELj4ELj32ELN7rocprim17ROCPRIM_304000_NS17warp_store_methodE1EiEvPT3_S4_
	.p2align	8
	.type	_Z17warp_store_kernelILj1024ELj4ELj32ELN7rocprim17ROCPRIM_304000_NS17warp_store_methodE1EiEvPT3_S4_,@function
_Z17warp_store_kernelILj1024ELj4ELj32ELN7rocprim17ROCPRIM_304000_NS17warp_store_methodE1EiEvPT3_S4_: ; @_Z17warp_store_kernelILj1024ELj4ELj32ELN7rocprim17ROCPRIM_304000_NS17warp_store_methodE1EiEvPT3_S4_
; %bb.0:
	s_load_dwordx4 s[0:3], s[4:5], 0x0
	v_lshlrev_b32_e32 v4, 4, v0
	v_mbcnt_lo_u32_b32 v5, -1, 0
	v_mbcnt_hi_u32_b32 v5, -1, v5
	v_and_b32_e32 v5, 31, v5
	s_waitcnt lgkmcnt(0)
	global_load_dwordx4 v[0:3], v4, s[0:1]
	v_and_b32_e32 v4, 0x3e00, v4
	v_mov_b32_e32 v6, s3
	v_add_co_u32_e32 v4, vcc, s2, v4
	v_lshlrev_b32_e32 v5, 2, v5
	v_addc_co_u32_e32 v6, vcc, 0, v6, vcc
	v_add_co_u32_e32 v4, vcc, v4, v5
	v_addc_co_u32_e32 v5, vcc, 0, v6, vcc
	s_waitcnt vmcnt(0)
	global_store_dword v[4:5], v0, off
	global_store_dword v[4:5], v1, off offset:128
	global_store_dword v[4:5], v2, off offset:256
	;; [unrolled: 1-line block ×3, first 2 shown]
	s_endpgm
	.section	.rodata,"a",@progbits
	.p2align	6, 0x0
	.amdhsa_kernel _Z17warp_store_kernelILj1024ELj4ELj32ELN7rocprim17ROCPRIM_304000_NS17warp_store_methodE1EiEvPT3_S4_
		.amdhsa_group_segment_fixed_size 0
		.amdhsa_private_segment_fixed_size 0
		.amdhsa_kernarg_size 16
		.amdhsa_user_sgpr_count 6
		.amdhsa_user_sgpr_private_segment_buffer 1
		.amdhsa_user_sgpr_dispatch_ptr 0
		.amdhsa_user_sgpr_queue_ptr 0
		.amdhsa_user_sgpr_kernarg_segment_ptr 1
		.amdhsa_user_sgpr_dispatch_id 0
		.amdhsa_user_sgpr_flat_scratch_init 0
		.amdhsa_user_sgpr_private_segment_size 0
		.amdhsa_uses_dynamic_stack 0
		.amdhsa_system_sgpr_private_segment_wavefront_offset 0
		.amdhsa_system_sgpr_workgroup_id_x 1
		.amdhsa_system_sgpr_workgroup_id_y 0
		.amdhsa_system_sgpr_workgroup_id_z 0
		.amdhsa_system_sgpr_workgroup_info 0
		.amdhsa_system_vgpr_workitem_id 0
		.amdhsa_next_free_vgpr 7
		.amdhsa_next_free_sgpr 6
		.amdhsa_reserve_vcc 1
		.amdhsa_reserve_flat_scratch 0
		.amdhsa_float_round_mode_32 0
		.amdhsa_float_round_mode_16_64 0
		.amdhsa_float_denorm_mode_32 3
		.amdhsa_float_denorm_mode_16_64 3
		.amdhsa_dx10_clamp 1
		.amdhsa_ieee_mode 1
		.amdhsa_fp16_overflow 0
		.amdhsa_exception_fp_ieee_invalid_op 0
		.amdhsa_exception_fp_denorm_src 0
		.amdhsa_exception_fp_ieee_div_zero 0
		.amdhsa_exception_fp_ieee_overflow 0
		.amdhsa_exception_fp_ieee_underflow 0
		.amdhsa_exception_fp_ieee_inexact 0
		.amdhsa_exception_int_div_zero 0
	.end_amdhsa_kernel
	.section	.text._Z17warp_store_kernelILj1024ELj4ELj32ELN7rocprim17ROCPRIM_304000_NS17warp_store_methodE1EiEvPT3_S4_,"axG",@progbits,_Z17warp_store_kernelILj1024ELj4ELj32ELN7rocprim17ROCPRIM_304000_NS17warp_store_methodE1EiEvPT3_S4_,comdat
.Lfunc_end34:
	.size	_Z17warp_store_kernelILj1024ELj4ELj32ELN7rocprim17ROCPRIM_304000_NS17warp_store_methodE1EiEvPT3_S4_, .Lfunc_end34-_Z17warp_store_kernelILj1024ELj4ELj32ELN7rocprim17ROCPRIM_304000_NS17warp_store_methodE1EiEvPT3_S4_
                                        ; -- End function
	.set _Z17warp_store_kernelILj1024ELj4ELj32ELN7rocprim17ROCPRIM_304000_NS17warp_store_methodE1EiEvPT3_S4_.num_vgpr, 7
	.set _Z17warp_store_kernelILj1024ELj4ELj32ELN7rocprim17ROCPRIM_304000_NS17warp_store_methodE1EiEvPT3_S4_.num_agpr, 0
	.set _Z17warp_store_kernelILj1024ELj4ELj32ELN7rocprim17ROCPRIM_304000_NS17warp_store_methodE1EiEvPT3_S4_.numbered_sgpr, 6
	.set _Z17warp_store_kernelILj1024ELj4ELj32ELN7rocprim17ROCPRIM_304000_NS17warp_store_methodE1EiEvPT3_S4_.num_named_barrier, 0
	.set _Z17warp_store_kernelILj1024ELj4ELj32ELN7rocprim17ROCPRIM_304000_NS17warp_store_methodE1EiEvPT3_S4_.private_seg_size, 0
	.set _Z17warp_store_kernelILj1024ELj4ELj32ELN7rocprim17ROCPRIM_304000_NS17warp_store_methodE1EiEvPT3_S4_.uses_vcc, 1
	.set _Z17warp_store_kernelILj1024ELj4ELj32ELN7rocprim17ROCPRIM_304000_NS17warp_store_methodE1EiEvPT3_S4_.uses_flat_scratch, 0
	.set _Z17warp_store_kernelILj1024ELj4ELj32ELN7rocprim17ROCPRIM_304000_NS17warp_store_methodE1EiEvPT3_S4_.has_dyn_sized_stack, 0
	.set _Z17warp_store_kernelILj1024ELj4ELj32ELN7rocprim17ROCPRIM_304000_NS17warp_store_methodE1EiEvPT3_S4_.has_recursion, 0
	.set _Z17warp_store_kernelILj1024ELj4ELj32ELN7rocprim17ROCPRIM_304000_NS17warp_store_methodE1EiEvPT3_S4_.has_indirect_call, 0
	.section	.AMDGPU.csdata,"",@progbits
; Kernel info:
; codeLenInByte = 116
; TotalNumSgprs: 10
; NumVgprs: 7
; ScratchSize: 0
; MemoryBound: 0
; FloatMode: 240
; IeeeMode: 1
; LDSByteSize: 0 bytes/workgroup (compile time only)
; SGPRBlocks: 1
; VGPRBlocks: 1
; NumSGPRsForWavesPerEU: 10
; NumVGPRsForWavesPerEU: 7
; Occupancy: 10
; WaveLimiterHint : 1
; COMPUTE_PGM_RSRC2:SCRATCH_EN: 0
; COMPUTE_PGM_RSRC2:USER_SGPR: 6
; COMPUTE_PGM_RSRC2:TRAP_HANDLER: 0
; COMPUTE_PGM_RSRC2:TGID_X_EN: 1
; COMPUTE_PGM_RSRC2:TGID_Y_EN: 0
; COMPUTE_PGM_RSRC2:TGID_Z_EN: 0
; COMPUTE_PGM_RSRC2:TIDIG_COMP_CNT: 0
	.section	.text._Z17warp_store_kernelILj1024ELj4ELj32ELN7rocprim17ROCPRIM_304000_NS17warp_store_methodE0EiEvPT3_S4_,"axG",@progbits,_Z17warp_store_kernelILj1024ELj4ELj32ELN7rocprim17ROCPRIM_304000_NS17warp_store_methodE0EiEvPT3_S4_,comdat
	.protected	_Z17warp_store_kernelILj1024ELj4ELj32ELN7rocprim17ROCPRIM_304000_NS17warp_store_methodE0EiEvPT3_S4_ ; -- Begin function _Z17warp_store_kernelILj1024ELj4ELj32ELN7rocprim17ROCPRIM_304000_NS17warp_store_methodE0EiEvPT3_S4_
	.globl	_Z17warp_store_kernelILj1024ELj4ELj32ELN7rocprim17ROCPRIM_304000_NS17warp_store_methodE0EiEvPT3_S4_
	.p2align	8
	.type	_Z17warp_store_kernelILj1024ELj4ELj32ELN7rocprim17ROCPRIM_304000_NS17warp_store_methodE0EiEvPT3_S4_,@function
_Z17warp_store_kernelILj1024ELj4ELj32ELN7rocprim17ROCPRIM_304000_NS17warp_store_methodE0EiEvPT3_S4_: ; @_Z17warp_store_kernelILj1024ELj4ELj32ELN7rocprim17ROCPRIM_304000_NS17warp_store_methodE0EiEvPT3_S4_
; %bb.0:
	s_load_dwordx4 s[0:3], s[4:5], 0x0
	v_lshlrev_b32_e32 v4, 4, v0
	v_mbcnt_lo_u32_b32 v6, -1, 0
	v_mbcnt_hi_u32_b32 v6, -1, v6
	v_lshlrev_b32_e32 v6, 4, v6
	s_waitcnt lgkmcnt(0)
	global_load_dwordx4 v[0:3], v4, s[0:1]
	v_and_b32_e32 v4, 0x3e00, v4
	v_mov_b32_e32 v5, s3
	v_add_co_u32_e32 v4, vcc, s2, v4
	v_addc_co_u32_e32 v5, vcc, 0, v5, vcc
	v_and_b32_e32 v6, 0x1f0, v6
	v_add_co_u32_e32 v4, vcc, v4, v6
	v_addc_co_u32_e32 v5, vcc, 0, v5, vcc
	s_waitcnt vmcnt(0)
	global_store_dwordx4 v[4:5], v[0:3], off
	s_endpgm
	.section	.rodata,"a",@progbits
	.p2align	6, 0x0
	.amdhsa_kernel _Z17warp_store_kernelILj1024ELj4ELj32ELN7rocprim17ROCPRIM_304000_NS17warp_store_methodE0EiEvPT3_S4_
		.amdhsa_group_segment_fixed_size 0
		.amdhsa_private_segment_fixed_size 0
		.amdhsa_kernarg_size 16
		.amdhsa_user_sgpr_count 6
		.amdhsa_user_sgpr_private_segment_buffer 1
		.amdhsa_user_sgpr_dispatch_ptr 0
		.amdhsa_user_sgpr_queue_ptr 0
		.amdhsa_user_sgpr_kernarg_segment_ptr 1
		.amdhsa_user_sgpr_dispatch_id 0
		.amdhsa_user_sgpr_flat_scratch_init 0
		.amdhsa_user_sgpr_private_segment_size 0
		.amdhsa_uses_dynamic_stack 0
		.amdhsa_system_sgpr_private_segment_wavefront_offset 0
		.amdhsa_system_sgpr_workgroup_id_x 1
		.amdhsa_system_sgpr_workgroup_id_y 0
		.amdhsa_system_sgpr_workgroup_id_z 0
		.amdhsa_system_sgpr_workgroup_info 0
		.amdhsa_system_vgpr_workitem_id 0
		.amdhsa_next_free_vgpr 7
		.amdhsa_next_free_sgpr 6
		.amdhsa_reserve_vcc 1
		.amdhsa_reserve_flat_scratch 0
		.amdhsa_float_round_mode_32 0
		.amdhsa_float_round_mode_16_64 0
		.amdhsa_float_denorm_mode_32 3
		.amdhsa_float_denorm_mode_16_64 3
		.amdhsa_dx10_clamp 1
		.amdhsa_ieee_mode 1
		.amdhsa_fp16_overflow 0
		.amdhsa_exception_fp_ieee_invalid_op 0
		.amdhsa_exception_fp_denorm_src 0
		.amdhsa_exception_fp_ieee_div_zero 0
		.amdhsa_exception_fp_ieee_overflow 0
		.amdhsa_exception_fp_ieee_underflow 0
		.amdhsa_exception_fp_ieee_inexact 0
		.amdhsa_exception_int_div_zero 0
	.end_amdhsa_kernel
	.section	.text._Z17warp_store_kernelILj1024ELj4ELj32ELN7rocprim17ROCPRIM_304000_NS17warp_store_methodE0EiEvPT3_S4_,"axG",@progbits,_Z17warp_store_kernelILj1024ELj4ELj32ELN7rocprim17ROCPRIM_304000_NS17warp_store_methodE0EiEvPT3_S4_,comdat
.Lfunc_end35:
	.size	_Z17warp_store_kernelILj1024ELj4ELj32ELN7rocprim17ROCPRIM_304000_NS17warp_store_methodE0EiEvPT3_S4_, .Lfunc_end35-_Z17warp_store_kernelILj1024ELj4ELj32ELN7rocprim17ROCPRIM_304000_NS17warp_store_methodE0EiEvPT3_S4_
                                        ; -- End function
	.set _Z17warp_store_kernelILj1024ELj4ELj32ELN7rocprim17ROCPRIM_304000_NS17warp_store_methodE0EiEvPT3_S4_.num_vgpr, 7
	.set _Z17warp_store_kernelILj1024ELj4ELj32ELN7rocprim17ROCPRIM_304000_NS17warp_store_methodE0EiEvPT3_S4_.num_agpr, 0
	.set _Z17warp_store_kernelILj1024ELj4ELj32ELN7rocprim17ROCPRIM_304000_NS17warp_store_methodE0EiEvPT3_S4_.numbered_sgpr, 6
	.set _Z17warp_store_kernelILj1024ELj4ELj32ELN7rocprim17ROCPRIM_304000_NS17warp_store_methodE0EiEvPT3_S4_.num_named_barrier, 0
	.set _Z17warp_store_kernelILj1024ELj4ELj32ELN7rocprim17ROCPRIM_304000_NS17warp_store_methodE0EiEvPT3_S4_.private_seg_size, 0
	.set _Z17warp_store_kernelILj1024ELj4ELj32ELN7rocprim17ROCPRIM_304000_NS17warp_store_methodE0EiEvPT3_S4_.uses_vcc, 1
	.set _Z17warp_store_kernelILj1024ELj4ELj32ELN7rocprim17ROCPRIM_304000_NS17warp_store_methodE0EiEvPT3_S4_.uses_flat_scratch, 0
	.set _Z17warp_store_kernelILj1024ELj4ELj32ELN7rocprim17ROCPRIM_304000_NS17warp_store_methodE0EiEvPT3_S4_.has_dyn_sized_stack, 0
	.set _Z17warp_store_kernelILj1024ELj4ELj32ELN7rocprim17ROCPRIM_304000_NS17warp_store_methodE0EiEvPT3_S4_.has_recursion, 0
	.set _Z17warp_store_kernelILj1024ELj4ELj32ELN7rocprim17ROCPRIM_304000_NS17warp_store_methodE0EiEvPT3_S4_.has_indirect_call, 0
	.section	.AMDGPU.csdata,"",@progbits
; Kernel info:
; codeLenInByte = 96
; TotalNumSgprs: 10
; NumVgprs: 7
; ScratchSize: 0
; MemoryBound: 0
; FloatMode: 240
; IeeeMode: 1
; LDSByteSize: 0 bytes/workgroup (compile time only)
; SGPRBlocks: 1
; VGPRBlocks: 1
; NumSGPRsForWavesPerEU: 10
; NumVGPRsForWavesPerEU: 7
; Occupancy: 10
; WaveLimiterHint : 0
; COMPUTE_PGM_RSRC2:SCRATCH_EN: 0
; COMPUTE_PGM_RSRC2:USER_SGPR: 6
; COMPUTE_PGM_RSRC2:TRAP_HANDLER: 0
; COMPUTE_PGM_RSRC2:TGID_X_EN: 1
; COMPUTE_PGM_RSRC2:TGID_Y_EN: 0
; COMPUTE_PGM_RSRC2:TGID_Z_EN: 0
; COMPUTE_PGM_RSRC2:TIDIG_COMP_CNT: 0
	.section	.text._Z17warp_store_kernelILj1024ELj4ELj8ELN7rocprim17ROCPRIM_304000_NS17warp_store_methodE3EiEvPT3_S4_,"axG",@progbits,_Z17warp_store_kernelILj1024ELj4ELj8ELN7rocprim17ROCPRIM_304000_NS17warp_store_methodE3EiEvPT3_S4_,comdat
	.protected	_Z17warp_store_kernelILj1024ELj4ELj8ELN7rocprim17ROCPRIM_304000_NS17warp_store_methodE3EiEvPT3_S4_ ; -- Begin function _Z17warp_store_kernelILj1024ELj4ELj8ELN7rocprim17ROCPRIM_304000_NS17warp_store_methodE3EiEvPT3_S4_
	.globl	_Z17warp_store_kernelILj1024ELj4ELj8ELN7rocprim17ROCPRIM_304000_NS17warp_store_methodE3EiEvPT3_S4_
	.p2align	8
	.type	_Z17warp_store_kernelILj1024ELj4ELj8ELN7rocprim17ROCPRIM_304000_NS17warp_store_methodE3EiEvPT3_S4_,@function
_Z17warp_store_kernelILj1024ELj4ELj8ELN7rocprim17ROCPRIM_304000_NS17warp_store_methodE3EiEvPT3_S4_: ; @_Z17warp_store_kernelILj1024ELj4ELj8ELN7rocprim17ROCPRIM_304000_NS17warp_store_methodE3EiEvPT3_S4_
; %bb.0:
	s_load_dwordx4 s[0:3], s[4:5], 0x0
	v_lshlrev_b32_e32 v4, 4, v0
	v_mbcnt_lo_u32_b32 v5, -1, 0
	v_mbcnt_hi_u32_b32 v5, -1, v5
	v_and_b32_e32 v5, 7, v5
	s_waitcnt lgkmcnt(0)
	global_load_dwordx4 v[0:3], v4, s[0:1]
	v_and_b32_e32 v4, 0x3f80, v4
	v_lshl_or_b32 v6, v5, 4, v4
	v_lshlrev_b32_e32 v7, 2, v5
	v_mad_i32_i24 v5, v5, -12, v6
	v_mov_b32_e32 v8, s3
	v_add_co_u32_e32 v4, vcc, s2, v4
	v_addc_co_u32_e32 v8, vcc, 0, v8, vcc
	v_add_co_u32_e32 v4, vcc, v4, v7
	s_waitcnt vmcnt(0)
	ds_write_b128 v6, v[0:3]
	; wave barrier
	ds_read2_b32 v[0:1], v5 offset1:8
	ds_read2_b32 v[2:3], v5 offset0:16 offset1:24
	v_addc_co_u32_e32 v5, vcc, 0, v8, vcc
	s_waitcnt lgkmcnt(1)
	global_store_dword v[4:5], v0, off
	global_store_dword v[4:5], v1, off offset:32
	s_waitcnt lgkmcnt(0)
	global_store_dword v[4:5], v2, off offset:64
	global_store_dword v[4:5], v3, off offset:96
	s_endpgm
	.section	.rodata,"a",@progbits
	.p2align	6, 0x0
	.amdhsa_kernel _Z17warp_store_kernelILj1024ELj4ELj8ELN7rocprim17ROCPRIM_304000_NS17warp_store_methodE3EiEvPT3_S4_
		.amdhsa_group_segment_fixed_size 16384
		.amdhsa_private_segment_fixed_size 0
		.amdhsa_kernarg_size 16
		.amdhsa_user_sgpr_count 6
		.amdhsa_user_sgpr_private_segment_buffer 1
		.amdhsa_user_sgpr_dispatch_ptr 0
		.amdhsa_user_sgpr_queue_ptr 0
		.amdhsa_user_sgpr_kernarg_segment_ptr 1
		.amdhsa_user_sgpr_dispatch_id 0
		.amdhsa_user_sgpr_flat_scratch_init 0
		.amdhsa_user_sgpr_private_segment_size 0
		.amdhsa_uses_dynamic_stack 0
		.amdhsa_system_sgpr_private_segment_wavefront_offset 0
		.amdhsa_system_sgpr_workgroup_id_x 1
		.amdhsa_system_sgpr_workgroup_id_y 0
		.amdhsa_system_sgpr_workgroup_id_z 0
		.amdhsa_system_sgpr_workgroup_info 0
		.amdhsa_system_vgpr_workitem_id 0
		.amdhsa_next_free_vgpr 29
		.amdhsa_next_free_sgpr 61
		.amdhsa_reserve_vcc 1
		.amdhsa_reserve_flat_scratch 0
		.amdhsa_float_round_mode_32 0
		.amdhsa_float_round_mode_16_64 0
		.amdhsa_float_denorm_mode_32 3
		.amdhsa_float_denorm_mode_16_64 3
		.amdhsa_dx10_clamp 1
		.amdhsa_ieee_mode 1
		.amdhsa_fp16_overflow 0
		.amdhsa_exception_fp_ieee_invalid_op 0
		.amdhsa_exception_fp_denorm_src 0
		.amdhsa_exception_fp_ieee_div_zero 0
		.amdhsa_exception_fp_ieee_overflow 0
		.amdhsa_exception_fp_ieee_underflow 0
		.amdhsa_exception_fp_ieee_inexact 0
		.amdhsa_exception_int_div_zero 0
	.end_amdhsa_kernel
	.section	.text._Z17warp_store_kernelILj1024ELj4ELj8ELN7rocprim17ROCPRIM_304000_NS17warp_store_methodE3EiEvPT3_S4_,"axG",@progbits,_Z17warp_store_kernelILj1024ELj4ELj8ELN7rocprim17ROCPRIM_304000_NS17warp_store_methodE3EiEvPT3_S4_,comdat
.Lfunc_end36:
	.size	_Z17warp_store_kernelILj1024ELj4ELj8ELN7rocprim17ROCPRIM_304000_NS17warp_store_methodE3EiEvPT3_S4_, .Lfunc_end36-_Z17warp_store_kernelILj1024ELj4ELj8ELN7rocprim17ROCPRIM_304000_NS17warp_store_methodE3EiEvPT3_S4_
                                        ; -- End function
	.set _Z17warp_store_kernelILj1024ELj4ELj8ELN7rocprim17ROCPRIM_304000_NS17warp_store_methodE3EiEvPT3_S4_.num_vgpr, 9
	.set _Z17warp_store_kernelILj1024ELj4ELj8ELN7rocprim17ROCPRIM_304000_NS17warp_store_methodE3EiEvPT3_S4_.num_agpr, 0
	.set _Z17warp_store_kernelILj1024ELj4ELj8ELN7rocprim17ROCPRIM_304000_NS17warp_store_methodE3EiEvPT3_S4_.numbered_sgpr, 6
	.set _Z17warp_store_kernelILj1024ELj4ELj8ELN7rocprim17ROCPRIM_304000_NS17warp_store_methodE3EiEvPT3_S4_.num_named_barrier, 0
	.set _Z17warp_store_kernelILj1024ELj4ELj8ELN7rocprim17ROCPRIM_304000_NS17warp_store_methodE3EiEvPT3_S4_.private_seg_size, 0
	.set _Z17warp_store_kernelILj1024ELj4ELj8ELN7rocprim17ROCPRIM_304000_NS17warp_store_methodE3EiEvPT3_S4_.uses_vcc, 1
	.set _Z17warp_store_kernelILj1024ELj4ELj8ELN7rocprim17ROCPRIM_304000_NS17warp_store_methodE3EiEvPT3_S4_.uses_flat_scratch, 0
	.set _Z17warp_store_kernelILj1024ELj4ELj8ELN7rocprim17ROCPRIM_304000_NS17warp_store_methodE3EiEvPT3_S4_.has_dyn_sized_stack, 0
	.set _Z17warp_store_kernelILj1024ELj4ELj8ELN7rocprim17ROCPRIM_304000_NS17warp_store_methodE3EiEvPT3_S4_.has_recursion, 0
	.set _Z17warp_store_kernelILj1024ELj4ELj8ELN7rocprim17ROCPRIM_304000_NS17warp_store_methodE3EiEvPT3_S4_.has_indirect_call, 0
	.section	.AMDGPU.csdata,"",@progbits
; Kernel info:
; codeLenInByte = 164
; TotalNumSgprs: 10
; NumVgprs: 9
; ScratchSize: 0
; MemoryBound: 0
; FloatMode: 240
; IeeeMode: 1
; LDSByteSize: 16384 bytes/workgroup (compile time only)
; SGPRBlocks: 8
; VGPRBlocks: 7
; NumSGPRsForWavesPerEU: 65
; NumVGPRsForWavesPerEU: 29
; Occupancy: 8
; WaveLimiterHint : 0
; COMPUTE_PGM_RSRC2:SCRATCH_EN: 0
; COMPUTE_PGM_RSRC2:USER_SGPR: 6
; COMPUTE_PGM_RSRC2:TRAP_HANDLER: 0
; COMPUTE_PGM_RSRC2:TGID_X_EN: 1
; COMPUTE_PGM_RSRC2:TGID_Y_EN: 0
; COMPUTE_PGM_RSRC2:TGID_Z_EN: 0
; COMPUTE_PGM_RSRC2:TIDIG_COMP_CNT: 0
	.section	.text._Z17warp_store_kernelILj1024ELj4ELj8ELN7rocprim17ROCPRIM_304000_NS17warp_store_methodE2EiEvPT3_S4_,"axG",@progbits,_Z17warp_store_kernelILj1024ELj4ELj8ELN7rocprim17ROCPRIM_304000_NS17warp_store_methodE2EiEvPT3_S4_,comdat
	.protected	_Z17warp_store_kernelILj1024ELj4ELj8ELN7rocprim17ROCPRIM_304000_NS17warp_store_methodE2EiEvPT3_S4_ ; -- Begin function _Z17warp_store_kernelILj1024ELj4ELj8ELN7rocprim17ROCPRIM_304000_NS17warp_store_methodE2EiEvPT3_S4_
	.globl	_Z17warp_store_kernelILj1024ELj4ELj8ELN7rocprim17ROCPRIM_304000_NS17warp_store_methodE2EiEvPT3_S4_
	.p2align	8
	.type	_Z17warp_store_kernelILj1024ELj4ELj8ELN7rocprim17ROCPRIM_304000_NS17warp_store_methodE2EiEvPT3_S4_,@function
_Z17warp_store_kernelILj1024ELj4ELj8ELN7rocprim17ROCPRIM_304000_NS17warp_store_methodE2EiEvPT3_S4_: ; @_Z17warp_store_kernelILj1024ELj4ELj8ELN7rocprim17ROCPRIM_304000_NS17warp_store_methodE2EiEvPT3_S4_
; %bb.0:
	s_load_dwordx4 s[0:3], s[4:5], 0x0
	v_lshlrev_b32_e32 v4, 4, v0
	v_mbcnt_lo_u32_b32 v6, -1, 0
	v_mbcnt_hi_u32_b32 v6, -1, v6
	v_and_b32_e32 v6, 7, v6
	s_waitcnt lgkmcnt(0)
	global_load_dwordx4 v[0:3], v4, s[0:1]
	v_and_b32_e32 v4, 0x3f80, v4
	v_mov_b32_e32 v5, s3
	v_add_co_u32_e32 v4, vcc, s2, v4
	v_addc_co_u32_e32 v5, vcc, 0, v5, vcc
	v_lshlrev_b32_e32 v6, 4, v6
	v_add_co_u32_e32 v4, vcc, v4, v6
	v_addc_co_u32_e32 v5, vcc, 0, v5, vcc
	s_waitcnt vmcnt(0)
	global_store_dwordx4 v[4:5], v[0:3], off
	s_endpgm
	.section	.rodata,"a",@progbits
	.p2align	6, 0x0
	.amdhsa_kernel _Z17warp_store_kernelILj1024ELj4ELj8ELN7rocprim17ROCPRIM_304000_NS17warp_store_methodE2EiEvPT3_S4_
		.amdhsa_group_segment_fixed_size 0
		.amdhsa_private_segment_fixed_size 0
		.amdhsa_kernarg_size 16
		.amdhsa_user_sgpr_count 6
		.amdhsa_user_sgpr_private_segment_buffer 1
		.amdhsa_user_sgpr_dispatch_ptr 0
		.amdhsa_user_sgpr_queue_ptr 0
		.amdhsa_user_sgpr_kernarg_segment_ptr 1
		.amdhsa_user_sgpr_dispatch_id 0
		.amdhsa_user_sgpr_flat_scratch_init 0
		.amdhsa_user_sgpr_private_segment_size 0
		.amdhsa_uses_dynamic_stack 0
		.amdhsa_system_sgpr_private_segment_wavefront_offset 0
		.amdhsa_system_sgpr_workgroup_id_x 1
		.amdhsa_system_sgpr_workgroup_id_y 0
		.amdhsa_system_sgpr_workgroup_id_z 0
		.amdhsa_system_sgpr_workgroup_info 0
		.amdhsa_system_vgpr_workitem_id 0
		.amdhsa_next_free_vgpr 7
		.amdhsa_next_free_sgpr 6
		.amdhsa_reserve_vcc 1
		.amdhsa_reserve_flat_scratch 0
		.amdhsa_float_round_mode_32 0
		.amdhsa_float_round_mode_16_64 0
		.amdhsa_float_denorm_mode_32 3
		.amdhsa_float_denorm_mode_16_64 3
		.amdhsa_dx10_clamp 1
		.amdhsa_ieee_mode 1
		.amdhsa_fp16_overflow 0
		.amdhsa_exception_fp_ieee_invalid_op 0
		.amdhsa_exception_fp_denorm_src 0
		.amdhsa_exception_fp_ieee_div_zero 0
		.amdhsa_exception_fp_ieee_overflow 0
		.amdhsa_exception_fp_ieee_underflow 0
		.amdhsa_exception_fp_ieee_inexact 0
		.amdhsa_exception_int_div_zero 0
	.end_amdhsa_kernel
	.section	.text._Z17warp_store_kernelILj1024ELj4ELj8ELN7rocprim17ROCPRIM_304000_NS17warp_store_methodE2EiEvPT3_S4_,"axG",@progbits,_Z17warp_store_kernelILj1024ELj4ELj8ELN7rocprim17ROCPRIM_304000_NS17warp_store_methodE2EiEvPT3_S4_,comdat
.Lfunc_end37:
	.size	_Z17warp_store_kernelILj1024ELj4ELj8ELN7rocprim17ROCPRIM_304000_NS17warp_store_methodE2EiEvPT3_S4_, .Lfunc_end37-_Z17warp_store_kernelILj1024ELj4ELj8ELN7rocprim17ROCPRIM_304000_NS17warp_store_methodE2EiEvPT3_S4_
                                        ; -- End function
	.set _Z17warp_store_kernelILj1024ELj4ELj8ELN7rocprim17ROCPRIM_304000_NS17warp_store_methodE2EiEvPT3_S4_.num_vgpr, 7
	.set _Z17warp_store_kernelILj1024ELj4ELj8ELN7rocprim17ROCPRIM_304000_NS17warp_store_methodE2EiEvPT3_S4_.num_agpr, 0
	.set _Z17warp_store_kernelILj1024ELj4ELj8ELN7rocprim17ROCPRIM_304000_NS17warp_store_methodE2EiEvPT3_S4_.numbered_sgpr, 6
	.set _Z17warp_store_kernelILj1024ELj4ELj8ELN7rocprim17ROCPRIM_304000_NS17warp_store_methodE2EiEvPT3_S4_.num_named_barrier, 0
	.set _Z17warp_store_kernelILj1024ELj4ELj8ELN7rocprim17ROCPRIM_304000_NS17warp_store_methodE2EiEvPT3_S4_.private_seg_size, 0
	.set _Z17warp_store_kernelILj1024ELj4ELj8ELN7rocprim17ROCPRIM_304000_NS17warp_store_methodE2EiEvPT3_S4_.uses_vcc, 1
	.set _Z17warp_store_kernelILj1024ELj4ELj8ELN7rocprim17ROCPRIM_304000_NS17warp_store_methodE2EiEvPT3_S4_.uses_flat_scratch, 0
	.set _Z17warp_store_kernelILj1024ELj4ELj8ELN7rocprim17ROCPRIM_304000_NS17warp_store_methodE2EiEvPT3_S4_.has_dyn_sized_stack, 0
	.set _Z17warp_store_kernelILj1024ELj4ELj8ELN7rocprim17ROCPRIM_304000_NS17warp_store_methodE2EiEvPT3_S4_.has_recursion, 0
	.set _Z17warp_store_kernelILj1024ELj4ELj8ELN7rocprim17ROCPRIM_304000_NS17warp_store_methodE2EiEvPT3_S4_.has_indirect_call, 0
	.section	.AMDGPU.csdata,"",@progbits
; Kernel info:
; codeLenInByte = 92
; TotalNumSgprs: 10
; NumVgprs: 7
; ScratchSize: 0
; MemoryBound: 0
; FloatMode: 240
; IeeeMode: 1
; LDSByteSize: 0 bytes/workgroup (compile time only)
; SGPRBlocks: 1
; VGPRBlocks: 1
; NumSGPRsForWavesPerEU: 10
; NumVGPRsForWavesPerEU: 7
; Occupancy: 10
; WaveLimiterHint : 0
; COMPUTE_PGM_RSRC2:SCRATCH_EN: 0
; COMPUTE_PGM_RSRC2:USER_SGPR: 6
; COMPUTE_PGM_RSRC2:TRAP_HANDLER: 0
; COMPUTE_PGM_RSRC2:TGID_X_EN: 1
; COMPUTE_PGM_RSRC2:TGID_Y_EN: 0
; COMPUTE_PGM_RSRC2:TGID_Z_EN: 0
; COMPUTE_PGM_RSRC2:TIDIG_COMP_CNT: 0
	.section	.text._Z17warp_store_kernelILj1024ELj4ELj8ELN7rocprim17ROCPRIM_304000_NS17warp_store_methodE1EiEvPT3_S4_,"axG",@progbits,_Z17warp_store_kernelILj1024ELj4ELj8ELN7rocprim17ROCPRIM_304000_NS17warp_store_methodE1EiEvPT3_S4_,comdat
	.protected	_Z17warp_store_kernelILj1024ELj4ELj8ELN7rocprim17ROCPRIM_304000_NS17warp_store_methodE1EiEvPT3_S4_ ; -- Begin function _Z17warp_store_kernelILj1024ELj4ELj8ELN7rocprim17ROCPRIM_304000_NS17warp_store_methodE1EiEvPT3_S4_
	.globl	_Z17warp_store_kernelILj1024ELj4ELj8ELN7rocprim17ROCPRIM_304000_NS17warp_store_methodE1EiEvPT3_S4_
	.p2align	8
	.type	_Z17warp_store_kernelILj1024ELj4ELj8ELN7rocprim17ROCPRIM_304000_NS17warp_store_methodE1EiEvPT3_S4_,@function
_Z17warp_store_kernelILj1024ELj4ELj8ELN7rocprim17ROCPRIM_304000_NS17warp_store_methodE1EiEvPT3_S4_: ; @_Z17warp_store_kernelILj1024ELj4ELj8ELN7rocprim17ROCPRIM_304000_NS17warp_store_methodE1EiEvPT3_S4_
; %bb.0:
	s_load_dwordx4 s[0:3], s[4:5], 0x0
	v_lshlrev_b32_e32 v4, 4, v0
	v_mbcnt_lo_u32_b32 v5, -1, 0
	v_mbcnt_hi_u32_b32 v5, -1, v5
	v_and_b32_e32 v5, 7, v5
	s_waitcnt lgkmcnt(0)
	global_load_dwordx4 v[0:3], v4, s[0:1]
	v_and_b32_e32 v4, 0x3f80, v4
	v_mov_b32_e32 v6, s3
	v_add_co_u32_e32 v4, vcc, s2, v4
	v_lshlrev_b32_e32 v5, 2, v5
	v_addc_co_u32_e32 v6, vcc, 0, v6, vcc
	v_add_co_u32_e32 v4, vcc, v4, v5
	v_addc_co_u32_e32 v5, vcc, 0, v6, vcc
	s_waitcnt vmcnt(0)
	global_store_dword v[4:5], v0, off
	global_store_dword v[4:5], v1, off offset:32
	global_store_dword v[4:5], v2, off offset:64
	;; [unrolled: 1-line block ×3, first 2 shown]
	s_endpgm
	.section	.rodata,"a",@progbits
	.p2align	6, 0x0
	.amdhsa_kernel _Z17warp_store_kernelILj1024ELj4ELj8ELN7rocprim17ROCPRIM_304000_NS17warp_store_methodE1EiEvPT3_S4_
		.amdhsa_group_segment_fixed_size 0
		.amdhsa_private_segment_fixed_size 0
		.amdhsa_kernarg_size 16
		.amdhsa_user_sgpr_count 6
		.amdhsa_user_sgpr_private_segment_buffer 1
		.amdhsa_user_sgpr_dispatch_ptr 0
		.amdhsa_user_sgpr_queue_ptr 0
		.amdhsa_user_sgpr_kernarg_segment_ptr 1
		.amdhsa_user_sgpr_dispatch_id 0
		.amdhsa_user_sgpr_flat_scratch_init 0
		.amdhsa_user_sgpr_private_segment_size 0
		.amdhsa_uses_dynamic_stack 0
		.amdhsa_system_sgpr_private_segment_wavefront_offset 0
		.amdhsa_system_sgpr_workgroup_id_x 1
		.amdhsa_system_sgpr_workgroup_id_y 0
		.amdhsa_system_sgpr_workgroup_id_z 0
		.amdhsa_system_sgpr_workgroup_info 0
		.amdhsa_system_vgpr_workitem_id 0
		.amdhsa_next_free_vgpr 7
		.amdhsa_next_free_sgpr 6
		.amdhsa_reserve_vcc 1
		.amdhsa_reserve_flat_scratch 0
		.amdhsa_float_round_mode_32 0
		.amdhsa_float_round_mode_16_64 0
		.amdhsa_float_denorm_mode_32 3
		.amdhsa_float_denorm_mode_16_64 3
		.amdhsa_dx10_clamp 1
		.amdhsa_ieee_mode 1
		.amdhsa_fp16_overflow 0
		.amdhsa_exception_fp_ieee_invalid_op 0
		.amdhsa_exception_fp_denorm_src 0
		.amdhsa_exception_fp_ieee_div_zero 0
		.amdhsa_exception_fp_ieee_overflow 0
		.amdhsa_exception_fp_ieee_underflow 0
		.amdhsa_exception_fp_ieee_inexact 0
		.amdhsa_exception_int_div_zero 0
	.end_amdhsa_kernel
	.section	.text._Z17warp_store_kernelILj1024ELj4ELj8ELN7rocprim17ROCPRIM_304000_NS17warp_store_methodE1EiEvPT3_S4_,"axG",@progbits,_Z17warp_store_kernelILj1024ELj4ELj8ELN7rocprim17ROCPRIM_304000_NS17warp_store_methodE1EiEvPT3_S4_,comdat
.Lfunc_end38:
	.size	_Z17warp_store_kernelILj1024ELj4ELj8ELN7rocprim17ROCPRIM_304000_NS17warp_store_methodE1EiEvPT3_S4_, .Lfunc_end38-_Z17warp_store_kernelILj1024ELj4ELj8ELN7rocprim17ROCPRIM_304000_NS17warp_store_methodE1EiEvPT3_S4_
                                        ; -- End function
	.set _Z17warp_store_kernelILj1024ELj4ELj8ELN7rocprim17ROCPRIM_304000_NS17warp_store_methodE1EiEvPT3_S4_.num_vgpr, 7
	.set _Z17warp_store_kernelILj1024ELj4ELj8ELN7rocprim17ROCPRIM_304000_NS17warp_store_methodE1EiEvPT3_S4_.num_agpr, 0
	.set _Z17warp_store_kernelILj1024ELj4ELj8ELN7rocprim17ROCPRIM_304000_NS17warp_store_methodE1EiEvPT3_S4_.numbered_sgpr, 6
	.set _Z17warp_store_kernelILj1024ELj4ELj8ELN7rocprim17ROCPRIM_304000_NS17warp_store_methodE1EiEvPT3_S4_.num_named_barrier, 0
	.set _Z17warp_store_kernelILj1024ELj4ELj8ELN7rocprim17ROCPRIM_304000_NS17warp_store_methodE1EiEvPT3_S4_.private_seg_size, 0
	.set _Z17warp_store_kernelILj1024ELj4ELj8ELN7rocprim17ROCPRIM_304000_NS17warp_store_methodE1EiEvPT3_S4_.uses_vcc, 1
	.set _Z17warp_store_kernelILj1024ELj4ELj8ELN7rocprim17ROCPRIM_304000_NS17warp_store_methodE1EiEvPT3_S4_.uses_flat_scratch, 0
	.set _Z17warp_store_kernelILj1024ELj4ELj8ELN7rocprim17ROCPRIM_304000_NS17warp_store_methodE1EiEvPT3_S4_.has_dyn_sized_stack, 0
	.set _Z17warp_store_kernelILj1024ELj4ELj8ELN7rocprim17ROCPRIM_304000_NS17warp_store_methodE1EiEvPT3_S4_.has_recursion, 0
	.set _Z17warp_store_kernelILj1024ELj4ELj8ELN7rocprim17ROCPRIM_304000_NS17warp_store_methodE1EiEvPT3_S4_.has_indirect_call, 0
	.section	.AMDGPU.csdata,"",@progbits
; Kernel info:
; codeLenInByte = 116
; TotalNumSgprs: 10
; NumVgprs: 7
; ScratchSize: 0
; MemoryBound: 0
; FloatMode: 240
; IeeeMode: 1
; LDSByteSize: 0 bytes/workgroup (compile time only)
; SGPRBlocks: 1
; VGPRBlocks: 1
; NumSGPRsForWavesPerEU: 10
; NumVGPRsForWavesPerEU: 7
; Occupancy: 10
; WaveLimiterHint : 0
; COMPUTE_PGM_RSRC2:SCRATCH_EN: 0
; COMPUTE_PGM_RSRC2:USER_SGPR: 6
; COMPUTE_PGM_RSRC2:TRAP_HANDLER: 0
; COMPUTE_PGM_RSRC2:TGID_X_EN: 1
; COMPUTE_PGM_RSRC2:TGID_Y_EN: 0
; COMPUTE_PGM_RSRC2:TGID_Z_EN: 0
; COMPUTE_PGM_RSRC2:TIDIG_COMP_CNT: 0
	.section	.text._Z17warp_store_kernelILj1024ELj4ELj8ELN7rocprim17ROCPRIM_304000_NS17warp_store_methodE0EiEvPT3_S4_,"axG",@progbits,_Z17warp_store_kernelILj1024ELj4ELj8ELN7rocprim17ROCPRIM_304000_NS17warp_store_methodE0EiEvPT3_S4_,comdat
	.protected	_Z17warp_store_kernelILj1024ELj4ELj8ELN7rocprim17ROCPRIM_304000_NS17warp_store_methodE0EiEvPT3_S4_ ; -- Begin function _Z17warp_store_kernelILj1024ELj4ELj8ELN7rocprim17ROCPRIM_304000_NS17warp_store_methodE0EiEvPT3_S4_
	.globl	_Z17warp_store_kernelILj1024ELj4ELj8ELN7rocprim17ROCPRIM_304000_NS17warp_store_methodE0EiEvPT3_S4_
	.p2align	8
	.type	_Z17warp_store_kernelILj1024ELj4ELj8ELN7rocprim17ROCPRIM_304000_NS17warp_store_methodE0EiEvPT3_S4_,@function
_Z17warp_store_kernelILj1024ELj4ELj8ELN7rocprim17ROCPRIM_304000_NS17warp_store_methodE0EiEvPT3_S4_: ; @_Z17warp_store_kernelILj1024ELj4ELj8ELN7rocprim17ROCPRIM_304000_NS17warp_store_methodE0EiEvPT3_S4_
; %bb.0:
	s_load_dwordx4 s[0:3], s[4:5], 0x0
	v_lshlrev_b32_e32 v4, 4, v0
	v_mbcnt_lo_u32_b32 v6, -1, 0
	v_mbcnt_hi_u32_b32 v6, -1, v6
	v_lshlrev_b32_e32 v6, 4, v6
	s_waitcnt lgkmcnt(0)
	global_load_dwordx4 v[0:3], v4, s[0:1]
	v_and_b32_e32 v4, 0x3f80, v4
	v_mov_b32_e32 v5, s3
	v_add_co_u32_e32 v4, vcc, s2, v4
	v_addc_co_u32_e32 v5, vcc, 0, v5, vcc
	v_and_b32_e32 v6, 0x70, v6
	v_add_co_u32_e32 v4, vcc, v4, v6
	v_addc_co_u32_e32 v5, vcc, 0, v5, vcc
	s_waitcnt vmcnt(0)
	global_store_dwordx4 v[4:5], v[0:3], off
	s_endpgm
	.section	.rodata,"a",@progbits
	.p2align	6, 0x0
	.amdhsa_kernel _Z17warp_store_kernelILj1024ELj4ELj8ELN7rocprim17ROCPRIM_304000_NS17warp_store_methodE0EiEvPT3_S4_
		.amdhsa_group_segment_fixed_size 0
		.amdhsa_private_segment_fixed_size 0
		.amdhsa_kernarg_size 16
		.amdhsa_user_sgpr_count 6
		.amdhsa_user_sgpr_private_segment_buffer 1
		.amdhsa_user_sgpr_dispatch_ptr 0
		.amdhsa_user_sgpr_queue_ptr 0
		.amdhsa_user_sgpr_kernarg_segment_ptr 1
		.amdhsa_user_sgpr_dispatch_id 0
		.amdhsa_user_sgpr_flat_scratch_init 0
		.amdhsa_user_sgpr_private_segment_size 0
		.amdhsa_uses_dynamic_stack 0
		.amdhsa_system_sgpr_private_segment_wavefront_offset 0
		.amdhsa_system_sgpr_workgroup_id_x 1
		.amdhsa_system_sgpr_workgroup_id_y 0
		.amdhsa_system_sgpr_workgroup_id_z 0
		.amdhsa_system_sgpr_workgroup_info 0
		.amdhsa_system_vgpr_workitem_id 0
		.amdhsa_next_free_vgpr 7
		.amdhsa_next_free_sgpr 6
		.amdhsa_reserve_vcc 1
		.amdhsa_reserve_flat_scratch 0
		.amdhsa_float_round_mode_32 0
		.amdhsa_float_round_mode_16_64 0
		.amdhsa_float_denorm_mode_32 3
		.amdhsa_float_denorm_mode_16_64 3
		.amdhsa_dx10_clamp 1
		.amdhsa_ieee_mode 1
		.amdhsa_fp16_overflow 0
		.amdhsa_exception_fp_ieee_invalid_op 0
		.amdhsa_exception_fp_denorm_src 0
		.amdhsa_exception_fp_ieee_div_zero 0
		.amdhsa_exception_fp_ieee_overflow 0
		.amdhsa_exception_fp_ieee_underflow 0
		.amdhsa_exception_fp_ieee_inexact 0
		.amdhsa_exception_int_div_zero 0
	.end_amdhsa_kernel
	.section	.text._Z17warp_store_kernelILj1024ELj4ELj8ELN7rocprim17ROCPRIM_304000_NS17warp_store_methodE0EiEvPT3_S4_,"axG",@progbits,_Z17warp_store_kernelILj1024ELj4ELj8ELN7rocprim17ROCPRIM_304000_NS17warp_store_methodE0EiEvPT3_S4_,comdat
.Lfunc_end39:
	.size	_Z17warp_store_kernelILj1024ELj4ELj8ELN7rocprim17ROCPRIM_304000_NS17warp_store_methodE0EiEvPT3_S4_, .Lfunc_end39-_Z17warp_store_kernelILj1024ELj4ELj8ELN7rocprim17ROCPRIM_304000_NS17warp_store_methodE0EiEvPT3_S4_
                                        ; -- End function
	.set _Z17warp_store_kernelILj1024ELj4ELj8ELN7rocprim17ROCPRIM_304000_NS17warp_store_methodE0EiEvPT3_S4_.num_vgpr, 7
	.set _Z17warp_store_kernelILj1024ELj4ELj8ELN7rocprim17ROCPRIM_304000_NS17warp_store_methodE0EiEvPT3_S4_.num_agpr, 0
	.set _Z17warp_store_kernelILj1024ELj4ELj8ELN7rocprim17ROCPRIM_304000_NS17warp_store_methodE0EiEvPT3_S4_.numbered_sgpr, 6
	.set _Z17warp_store_kernelILj1024ELj4ELj8ELN7rocprim17ROCPRIM_304000_NS17warp_store_methodE0EiEvPT3_S4_.num_named_barrier, 0
	.set _Z17warp_store_kernelILj1024ELj4ELj8ELN7rocprim17ROCPRIM_304000_NS17warp_store_methodE0EiEvPT3_S4_.private_seg_size, 0
	.set _Z17warp_store_kernelILj1024ELj4ELj8ELN7rocprim17ROCPRIM_304000_NS17warp_store_methodE0EiEvPT3_S4_.uses_vcc, 1
	.set _Z17warp_store_kernelILj1024ELj4ELj8ELN7rocprim17ROCPRIM_304000_NS17warp_store_methodE0EiEvPT3_S4_.uses_flat_scratch, 0
	.set _Z17warp_store_kernelILj1024ELj4ELj8ELN7rocprim17ROCPRIM_304000_NS17warp_store_methodE0EiEvPT3_S4_.has_dyn_sized_stack, 0
	.set _Z17warp_store_kernelILj1024ELj4ELj8ELN7rocprim17ROCPRIM_304000_NS17warp_store_methodE0EiEvPT3_S4_.has_recursion, 0
	.set _Z17warp_store_kernelILj1024ELj4ELj8ELN7rocprim17ROCPRIM_304000_NS17warp_store_methodE0EiEvPT3_S4_.has_indirect_call, 0
	.section	.AMDGPU.csdata,"",@progbits
; Kernel info:
; codeLenInByte = 96
; TotalNumSgprs: 10
; NumVgprs: 7
; ScratchSize: 0
; MemoryBound: 0
; FloatMode: 240
; IeeeMode: 1
; LDSByteSize: 0 bytes/workgroup (compile time only)
; SGPRBlocks: 1
; VGPRBlocks: 1
; NumSGPRsForWavesPerEU: 10
; NumVGPRsForWavesPerEU: 7
; Occupancy: 10
; WaveLimiterHint : 0
; COMPUTE_PGM_RSRC2:SCRATCH_EN: 0
; COMPUTE_PGM_RSRC2:USER_SGPR: 6
; COMPUTE_PGM_RSRC2:TRAP_HANDLER: 0
; COMPUTE_PGM_RSRC2:TGID_X_EN: 1
; COMPUTE_PGM_RSRC2:TGID_Y_EN: 0
; COMPUTE_PGM_RSRC2:TGID_Z_EN: 0
; COMPUTE_PGM_RSRC2:TIDIG_COMP_CNT: 0
	.section	.text._Z25warp_store_guarded_kernelILj1024ELj4ELj1ELN7rocprim17ROCPRIM_304000_NS17warp_store_methodE3E12hip_bfloat16EvPT3_S5_i,"axG",@progbits,_Z25warp_store_guarded_kernelILj1024ELj4ELj1ELN7rocprim17ROCPRIM_304000_NS17warp_store_methodE3E12hip_bfloat16EvPT3_S5_i,comdat
	.protected	_Z25warp_store_guarded_kernelILj1024ELj4ELj1ELN7rocprim17ROCPRIM_304000_NS17warp_store_methodE3E12hip_bfloat16EvPT3_S5_i ; -- Begin function _Z25warp_store_guarded_kernelILj1024ELj4ELj1ELN7rocprim17ROCPRIM_304000_NS17warp_store_methodE3E12hip_bfloat16EvPT3_S5_i
	.globl	_Z25warp_store_guarded_kernelILj1024ELj4ELj1ELN7rocprim17ROCPRIM_304000_NS17warp_store_methodE3E12hip_bfloat16EvPT3_S5_i
	.p2align	8
	.type	_Z25warp_store_guarded_kernelILj1024ELj4ELj1ELN7rocprim17ROCPRIM_304000_NS17warp_store_methodE3E12hip_bfloat16EvPT3_S5_i,@function
_Z25warp_store_guarded_kernelILj1024ELj4ELj1ELN7rocprim17ROCPRIM_304000_NS17warp_store_methodE3E12hip_bfloat16EvPT3_S5_i: ; @_Z25warp_store_guarded_kernelILj1024ELj4ELj1ELN7rocprim17ROCPRIM_304000_NS17warp_store_methodE3E12hip_bfloat16EvPT3_S5_i
; %bb.0:
	s_load_dwordx4 s[8:11], s[4:5], 0x0
	s_load_dword s0, s[4:5], 0x10
	v_lshlrev_b32_e32 v2, 3, v0
	s_waitcnt lgkmcnt(0)
	global_load_dwordx2 v[3:4], v2, s[8:9]
	v_mov_b32_e32 v1, s11
	v_add_co_u32_e32 v0, vcc, s10, v2
	s_cmp_eq_u32 s0, 0
	v_addc_co_u32_e32 v1, vcc, 0, v1, vcc
	s_waitcnt vmcnt(0)
	ds_write_b64 v2, v[3:4]
	; wave barrier
	s_cbranch_scc1 .LBB40_2
; %bb.1:
	ds_read_u16 v3, v2
	s_waitcnt lgkmcnt(0)
	global_store_short v[0:1], v3, off
.LBB40_2:
	s_cmp_lt_u32 s0, 2
	s_cbranch_scc0 .LBB40_6
; %bb.3:
	ds_read_b32 v2, v2 offset:4
	s_cmp_lt_u32 s0, 3
	s_cbranch_scc0 .LBB40_7
.LBB40_4:
	s_cmp_lt_u32 s0, 4
	s_cbranch_scc0 .LBB40_8
.LBB40_5:
	s_endpgm
.LBB40_6:
	ds_read_u16 v3, v2 offset:2
	s_waitcnt lgkmcnt(0)
	global_store_short v[0:1], v3, off offset:2
	ds_read_b32 v2, v2 offset:4
	s_cmp_lt_u32 s0, 3
	s_cbranch_scc1 .LBB40_4
.LBB40_7:
	s_waitcnt lgkmcnt(0)
	global_store_short v[0:1], v2, off offset:4
	s_cmp_lt_u32 s0, 4
	s_cbranch_scc1 .LBB40_5
.LBB40_8:
	s_waitcnt lgkmcnt(0)
	global_store_short_d16_hi v[0:1], v2, off offset:6
	s_endpgm
	.section	.rodata,"a",@progbits
	.p2align	6, 0x0
	.amdhsa_kernel _Z25warp_store_guarded_kernelILj1024ELj4ELj1ELN7rocprim17ROCPRIM_304000_NS17warp_store_methodE3E12hip_bfloat16EvPT3_S5_i
		.amdhsa_group_segment_fixed_size 8192
		.amdhsa_private_segment_fixed_size 0
		.amdhsa_kernarg_size 20
		.amdhsa_user_sgpr_count 6
		.amdhsa_user_sgpr_private_segment_buffer 1
		.amdhsa_user_sgpr_dispatch_ptr 0
		.amdhsa_user_sgpr_queue_ptr 0
		.amdhsa_user_sgpr_kernarg_segment_ptr 1
		.amdhsa_user_sgpr_dispatch_id 0
		.amdhsa_user_sgpr_flat_scratch_init 0
		.amdhsa_user_sgpr_private_segment_size 0
		.amdhsa_uses_dynamic_stack 0
		.amdhsa_system_sgpr_private_segment_wavefront_offset 0
		.amdhsa_system_sgpr_workgroup_id_x 1
		.amdhsa_system_sgpr_workgroup_id_y 0
		.amdhsa_system_sgpr_workgroup_id_z 0
		.amdhsa_system_sgpr_workgroup_info 0
		.amdhsa_system_vgpr_workitem_id 0
		.amdhsa_next_free_vgpr 29
		.amdhsa_next_free_sgpr 61
		.amdhsa_reserve_vcc 1
		.amdhsa_reserve_flat_scratch 0
		.amdhsa_float_round_mode_32 0
		.amdhsa_float_round_mode_16_64 0
		.amdhsa_float_denorm_mode_32 3
		.amdhsa_float_denorm_mode_16_64 3
		.amdhsa_dx10_clamp 1
		.amdhsa_ieee_mode 1
		.amdhsa_fp16_overflow 0
		.amdhsa_exception_fp_ieee_invalid_op 0
		.amdhsa_exception_fp_denorm_src 0
		.amdhsa_exception_fp_ieee_div_zero 0
		.amdhsa_exception_fp_ieee_overflow 0
		.amdhsa_exception_fp_ieee_underflow 0
		.amdhsa_exception_fp_ieee_inexact 0
		.amdhsa_exception_int_div_zero 0
	.end_amdhsa_kernel
	.section	.text._Z25warp_store_guarded_kernelILj1024ELj4ELj1ELN7rocprim17ROCPRIM_304000_NS17warp_store_methodE3E12hip_bfloat16EvPT3_S5_i,"axG",@progbits,_Z25warp_store_guarded_kernelILj1024ELj4ELj1ELN7rocprim17ROCPRIM_304000_NS17warp_store_methodE3E12hip_bfloat16EvPT3_S5_i,comdat
.Lfunc_end40:
	.size	_Z25warp_store_guarded_kernelILj1024ELj4ELj1ELN7rocprim17ROCPRIM_304000_NS17warp_store_methodE3E12hip_bfloat16EvPT3_S5_i, .Lfunc_end40-_Z25warp_store_guarded_kernelILj1024ELj4ELj1ELN7rocprim17ROCPRIM_304000_NS17warp_store_methodE3E12hip_bfloat16EvPT3_S5_i
                                        ; -- End function
	.set _Z25warp_store_guarded_kernelILj1024ELj4ELj1ELN7rocprim17ROCPRIM_304000_NS17warp_store_methodE3E12hip_bfloat16EvPT3_S5_i.num_vgpr, 5
	.set _Z25warp_store_guarded_kernelILj1024ELj4ELj1ELN7rocprim17ROCPRIM_304000_NS17warp_store_methodE3E12hip_bfloat16EvPT3_S5_i.num_agpr, 0
	.set _Z25warp_store_guarded_kernelILj1024ELj4ELj1ELN7rocprim17ROCPRIM_304000_NS17warp_store_methodE3E12hip_bfloat16EvPT3_S5_i.numbered_sgpr, 12
	.set _Z25warp_store_guarded_kernelILj1024ELj4ELj1ELN7rocprim17ROCPRIM_304000_NS17warp_store_methodE3E12hip_bfloat16EvPT3_S5_i.num_named_barrier, 0
	.set _Z25warp_store_guarded_kernelILj1024ELj4ELj1ELN7rocprim17ROCPRIM_304000_NS17warp_store_methodE3E12hip_bfloat16EvPT3_S5_i.private_seg_size, 0
	.set _Z25warp_store_guarded_kernelILj1024ELj4ELj1ELN7rocprim17ROCPRIM_304000_NS17warp_store_methodE3E12hip_bfloat16EvPT3_S5_i.uses_vcc, 1
	.set _Z25warp_store_guarded_kernelILj1024ELj4ELj1ELN7rocprim17ROCPRIM_304000_NS17warp_store_methodE3E12hip_bfloat16EvPT3_S5_i.uses_flat_scratch, 0
	.set _Z25warp_store_guarded_kernelILj1024ELj4ELj1ELN7rocprim17ROCPRIM_304000_NS17warp_store_methodE3E12hip_bfloat16EvPT3_S5_i.has_dyn_sized_stack, 0
	.set _Z25warp_store_guarded_kernelILj1024ELj4ELj1ELN7rocprim17ROCPRIM_304000_NS17warp_store_methodE3E12hip_bfloat16EvPT3_S5_i.has_recursion, 0
	.set _Z25warp_store_guarded_kernelILj1024ELj4ELj1ELN7rocprim17ROCPRIM_304000_NS17warp_store_methodE3E12hip_bfloat16EvPT3_S5_i.has_indirect_call, 0
	.section	.AMDGPU.csdata,"",@progbits
; Kernel info:
; codeLenInByte = 192
; TotalNumSgprs: 16
; NumVgprs: 5
; ScratchSize: 0
; MemoryBound: 0
; FloatMode: 240
; IeeeMode: 1
; LDSByteSize: 8192 bytes/workgroup (compile time only)
; SGPRBlocks: 8
; VGPRBlocks: 7
; NumSGPRsForWavesPerEU: 65
; NumVGPRsForWavesPerEU: 29
; Occupancy: 8
; WaveLimiterHint : 0
; COMPUTE_PGM_RSRC2:SCRATCH_EN: 0
; COMPUTE_PGM_RSRC2:USER_SGPR: 6
; COMPUTE_PGM_RSRC2:TRAP_HANDLER: 0
; COMPUTE_PGM_RSRC2:TGID_X_EN: 1
; COMPUTE_PGM_RSRC2:TGID_Y_EN: 0
; COMPUTE_PGM_RSRC2:TGID_Z_EN: 0
; COMPUTE_PGM_RSRC2:TIDIG_COMP_CNT: 0
	.section	.text._Z25warp_store_guarded_kernelILj1024ELj4ELj1ELN7rocprim17ROCPRIM_304000_NS17warp_store_methodE2E12hip_bfloat16EvPT3_S5_i,"axG",@progbits,_Z25warp_store_guarded_kernelILj1024ELj4ELj1ELN7rocprim17ROCPRIM_304000_NS17warp_store_methodE2E12hip_bfloat16EvPT3_S5_i,comdat
	.protected	_Z25warp_store_guarded_kernelILj1024ELj4ELj1ELN7rocprim17ROCPRIM_304000_NS17warp_store_methodE2E12hip_bfloat16EvPT3_S5_i ; -- Begin function _Z25warp_store_guarded_kernelILj1024ELj4ELj1ELN7rocprim17ROCPRIM_304000_NS17warp_store_methodE2E12hip_bfloat16EvPT3_S5_i
	.globl	_Z25warp_store_guarded_kernelILj1024ELj4ELj1ELN7rocprim17ROCPRIM_304000_NS17warp_store_methodE2E12hip_bfloat16EvPT3_S5_i
	.p2align	8
	.type	_Z25warp_store_guarded_kernelILj1024ELj4ELj1ELN7rocprim17ROCPRIM_304000_NS17warp_store_methodE2E12hip_bfloat16EvPT3_S5_i,@function
_Z25warp_store_guarded_kernelILj1024ELj4ELj1ELN7rocprim17ROCPRIM_304000_NS17warp_store_methodE2E12hip_bfloat16EvPT3_S5_i: ; @_Z25warp_store_guarded_kernelILj1024ELj4ELj1ELN7rocprim17ROCPRIM_304000_NS17warp_store_methodE2E12hip_bfloat16EvPT3_S5_i
; %bb.0:
	s_load_dwordx4 s[0:3], s[4:5], 0x0
	s_load_dword s6, s[4:5], 0x10
	v_lshlrev_b32_e32 v4, 3, v0
	s_waitcnt lgkmcnt(0)
	global_load_dword v3, v4, s[0:1] offset:2
	global_load_ushort v2, v4, s[0:1] offset:6
	v_mov_b32_e32 v1, s3
	v_add_co_u32_e32 v0, vcc, s2, v4
	s_cmp_eq_u32 s6, 0
	v_addc_co_u32_e32 v1, vcc, 0, v1, vcc
	s_cbranch_scc1 .LBB41_2
; %bb.1:
	v_mov_b32_e32 v5, s1
	v_add_co_u32_e32 v4, vcc, s0, v4
	v_addc_co_u32_e32 v5, vcc, 0, v5, vcc
	global_load_ushort v4, v[4:5], off
	s_waitcnt vmcnt(0)
	global_store_short v[0:1], v4, off
.LBB41_2:
	s_cmp_lt_u32 s6, 2
	s_cbranch_scc0 .LBB41_6
; %bb.3:
	s_cmp_lt_u32 s6, 3
	s_cbranch_scc0 .LBB41_7
.LBB41_4:
	s_cmp_lt_u32 s6, 4
	s_cbranch_scc0 .LBB41_8
.LBB41_5:
	s_endpgm
.LBB41_6:
	s_waitcnt vmcnt(1)
	global_store_short v[0:1], v3, off offset:2
	s_cmp_lt_u32 s6, 3
	s_cbranch_scc1 .LBB41_4
.LBB41_7:
	s_waitcnt vmcnt(1)
	global_store_short_d16_hi v[0:1], v3, off offset:4
	s_cmp_lt_u32 s6, 4
	s_cbranch_scc1 .LBB41_5
.LBB41_8:
	s_waitcnt vmcnt(0)
	global_store_short v[0:1], v2, off offset:6
	s_endpgm
	.section	.rodata,"a",@progbits
	.p2align	6, 0x0
	.amdhsa_kernel _Z25warp_store_guarded_kernelILj1024ELj4ELj1ELN7rocprim17ROCPRIM_304000_NS17warp_store_methodE2E12hip_bfloat16EvPT3_S5_i
		.amdhsa_group_segment_fixed_size 0
		.amdhsa_private_segment_fixed_size 0
		.amdhsa_kernarg_size 20
		.amdhsa_user_sgpr_count 6
		.amdhsa_user_sgpr_private_segment_buffer 1
		.amdhsa_user_sgpr_dispatch_ptr 0
		.amdhsa_user_sgpr_queue_ptr 0
		.amdhsa_user_sgpr_kernarg_segment_ptr 1
		.amdhsa_user_sgpr_dispatch_id 0
		.amdhsa_user_sgpr_flat_scratch_init 0
		.amdhsa_user_sgpr_private_segment_size 0
		.amdhsa_uses_dynamic_stack 0
		.amdhsa_system_sgpr_private_segment_wavefront_offset 0
		.amdhsa_system_sgpr_workgroup_id_x 1
		.amdhsa_system_sgpr_workgroup_id_y 0
		.amdhsa_system_sgpr_workgroup_id_z 0
		.amdhsa_system_sgpr_workgroup_info 0
		.amdhsa_system_vgpr_workitem_id 0
		.amdhsa_next_free_vgpr 6
		.amdhsa_next_free_sgpr 7
		.amdhsa_reserve_vcc 1
		.amdhsa_reserve_flat_scratch 0
		.amdhsa_float_round_mode_32 0
		.amdhsa_float_round_mode_16_64 0
		.amdhsa_float_denorm_mode_32 3
		.amdhsa_float_denorm_mode_16_64 3
		.amdhsa_dx10_clamp 1
		.amdhsa_ieee_mode 1
		.amdhsa_fp16_overflow 0
		.amdhsa_exception_fp_ieee_invalid_op 0
		.amdhsa_exception_fp_denorm_src 0
		.amdhsa_exception_fp_ieee_div_zero 0
		.amdhsa_exception_fp_ieee_overflow 0
		.amdhsa_exception_fp_ieee_underflow 0
		.amdhsa_exception_fp_ieee_inexact 0
		.amdhsa_exception_int_div_zero 0
	.end_amdhsa_kernel
	.section	.text._Z25warp_store_guarded_kernelILj1024ELj4ELj1ELN7rocprim17ROCPRIM_304000_NS17warp_store_methodE2E12hip_bfloat16EvPT3_S5_i,"axG",@progbits,_Z25warp_store_guarded_kernelILj1024ELj4ELj1ELN7rocprim17ROCPRIM_304000_NS17warp_store_methodE2E12hip_bfloat16EvPT3_S5_i,comdat
.Lfunc_end41:
	.size	_Z25warp_store_guarded_kernelILj1024ELj4ELj1ELN7rocprim17ROCPRIM_304000_NS17warp_store_methodE2E12hip_bfloat16EvPT3_S5_i, .Lfunc_end41-_Z25warp_store_guarded_kernelILj1024ELj4ELj1ELN7rocprim17ROCPRIM_304000_NS17warp_store_methodE2E12hip_bfloat16EvPT3_S5_i
                                        ; -- End function
	.set _Z25warp_store_guarded_kernelILj1024ELj4ELj1ELN7rocprim17ROCPRIM_304000_NS17warp_store_methodE2E12hip_bfloat16EvPT3_S5_i.num_vgpr, 6
	.set _Z25warp_store_guarded_kernelILj1024ELj4ELj1ELN7rocprim17ROCPRIM_304000_NS17warp_store_methodE2E12hip_bfloat16EvPT3_S5_i.num_agpr, 0
	.set _Z25warp_store_guarded_kernelILj1024ELj4ELj1ELN7rocprim17ROCPRIM_304000_NS17warp_store_methodE2E12hip_bfloat16EvPT3_S5_i.numbered_sgpr, 7
	.set _Z25warp_store_guarded_kernelILj1024ELj4ELj1ELN7rocprim17ROCPRIM_304000_NS17warp_store_methodE2E12hip_bfloat16EvPT3_S5_i.num_named_barrier, 0
	.set _Z25warp_store_guarded_kernelILj1024ELj4ELj1ELN7rocprim17ROCPRIM_304000_NS17warp_store_methodE2E12hip_bfloat16EvPT3_S5_i.private_seg_size, 0
	.set _Z25warp_store_guarded_kernelILj1024ELj4ELj1ELN7rocprim17ROCPRIM_304000_NS17warp_store_methodE2E12hip_bfloat16EvPT3_S5_i.uses_vcc, 1
	.set _Z25warp_store_guarded_kernelILj1024ELj4ELj1ELN7rocprim17ROCPRIM_304000_NS17warp_store_methodE2E12hip_bfloat16EvPT3_S5_i.uses_flat_scratch, 0
	.set _Z25warp_store_guarded_kernelILj1024ELj4ELj1ELN7rocprim17ROCPRIM_304000_NS17warp_store_methodE2E12hip_bfloat16EvPT3_S5_i.has_dyn_sized_stack, 0
	.set _Z25warp_store_guarded_kernelILj1024ELj4ELj1ELN7rocprim17ROCPRIM_304000_NS17warp_store_methodE2E12hip_bfloat16EvPT3_S5_i.has_recursion, 0
	.set _Z25warp_store_guarded_kernelILj1024ELj4ELj1ELN7rocprim17ROCPRIM_304000_NS17warp_store_methodE2E12hip_bfloat16EvPT3_S5_i.has_indirect_call, 0
	.section	.AMDGPU.csdata,"",@progbits
; Kernel info:
; codeLenInByte = 176
; TotalNumSgprs: 11
; NumVgprs: 6
; ScratchSize: 0
; MemoryBound: 0
; FloatMode: 240
; IeeeMode: 1
; LDSByteSize: 0 bytes/workgroup (compile time only)
; SGPRBlocks: 1
; VGPRBlocks: 1
; NumSGPRsForWavesPerEU: 11
; NumVGPRsForWavesPerEU: 6
; Occupancy: 10
; WaveLimiterHint : 0
; COMPUTE_PGM_RSRC2:SCRATCH_EN: 0
; COMPUTE_PGM_RSRC2:USER_SGPR: 6
; COMPUTE_PGM_RSRC2:TRAP_HANDLER: 0
; COMPUTE_PGM_RSRC2:TGID_X_EN: 1
; COMPUTE_PGM_RSRC2:TGID_Y_EN: 0
; COMPUTE_PGM_RSRC2:TGID_Z_EN: 0
; COMPUTE_PGM_RSRC2:TIDIG_COMP_CNT: 0
	.section	.text._Z25warp_store_guarded_kernelILj1024ELj4ELj1ELN7rocprim17ROCPRIM_304000_NS17warp_store_methodE1E12hip_bfloat16EvPT3_S5_i,"axG",@progbits,_Z25warp_store_guarded_kernelILj1024ELj4ELj1ELN7rocprim17ROCPRIM_304000_NS17warp_store_methodE1E12hip_bfloat16EvPT3_S5_i,comdat
	.protected	_Z25warp_store_guarded_kernelILj1024ELj4ELj1ELN7rocprim17ROCPRIM_304000_NS17warp_store_methodE1E12hip_bfloat16EvPT3_S5_i ; -- Begin function _Z25warp_store_guarded_kernelILj1024ELj4ELj1ELN7rocprim17ROCPRIM_304000_NS17warp_store_methodE1E12hip_bfloat16EvPT3_S5_i
	.globl	_Z25warp_store_guarded_kernelILj1024ELj4ELj1ELN7rocprim17ROCPRIM_304000_NS17warp_store_methodE1E12hip_bfloat16EvPT3_S5_i
	.p2align	8
	.type	_Z25warp_store_guarded_kernelILj1024ELj4ELj1ELN7rocprim17ROCPRIM_304000_NS17warp_store_methodE1E12hip_bfloat16EvPT3_S5_i,@function
_Z25warp_store_guarded_kernelILj1024ELj4ELj1ELN7rocprim17ROCPRIM_304000_NS17warp_store_methodE1E12hip_bfloat16EvPT3_S5_i: ; @_Z25warp_store_guarded_kernelILj1024ELj4ELj1ELN7rocprim17ROCPRIM_304000_NS17warp_store_methodE1E12hip_bfloat16EvPT3_S5_i
; %bb.0:
	s_load_dwordx4 s[0:3], s[4:5], 0x0
	s_load_dword s6, s[4:5], 0x10
	v_lshlrev_b32_e32 v4, 3, v0
	s_waitcnt lgkmcnt(0)
	global_load_dword v3, v4, s[0:1] offset:2
	global_load_ushort v2, v4, s[0:1] offset:6
	v_mov_b32_e32 v1, s3
	v_add_co_u32_e32 v0, vcc, s2, v4
	s_cmp_eq_u32 s6, 0
	v_addc_co_u32_e32 v1, vcc, 0, v1, vcc
	s_cbranch_scc1 .LBB42_2
; %bb.1:
	v_mov_b32_e32 v5, s1
	v_add_co_u32_e32 v4, vcc, s0, v4
	v_addc_co_u32_e32 v5, vcc, 0, v5, vcc
	global_load_ushort v4, v[4:5], off
	s_waitcnt vmcnt(0)
	global_store_short v[0:1], v4, off
.LBB42_2:
	s_cmp_lt_u32 s6, 2
	s_cbranch_scc0 .LBB42_6
; %bb.3:
	s_cmp_lt_u32 s6, 3
	s_cbranch_scc0 .LBB42_7
.LBB42_4:
	s_cmp_lt_u32 s6, 4
	s_cbranch_scc0 .LBB42_8
.LBB42_5:
	s_endpgm
.LBB42_6:
	s_waitcnt vmcnt(1)
	global_store_short v[0:1], v3, off offset:2
	s_cmp_lt_u32 s6, 3
	s_cbranch_scc1 .LBB42_4
.LBB42_7:
	s_waitcnt vmcnt(1)
	global_store_short_d16_hi v[0:1], v3, off offset:4
	s_cmp_lt_u32 s6, 4
	s_cbranch_scc1 .LBB42_5
.LBB42_8:
	s_waitcnt vmcnt(0)
	global_store_short v[0:1], v2, off offset:6
	s_endpgm
	.section	.rodata,"a",@progbits
	.p2align	6, 0x0
	.amdhsa_kernel _Z25warp_store_guarded_kernelILj1024ELj4ELj1ELN7rocprim17ROCPRIM_304000_NS17warp_store_methodE1E12hip_bfloat16EvPT3_S5_i
		.amdhsa_group_segment_fixed_size 0
		.amdhsa_private_segment_fixed_size 0
		.amdhsa_kernarg_size 20
		.amdhsa_user_sgpr_count 6
		.amdhsa_user_sgpr_private_segment_buffer 1
		.amdhsa_user_sgpr_dispatch_ptr 0
		.amdhsa_user_sgpr_queue_ptr 0
		.amdhsa_user_sgpr_kernarg_segment_ptr 1
		.amdhsa_user_sgpr_dispatch_id 0
		.amdhsa_user_sgpr_flat_scratch_init 0
		.amdhsa_user_sgpr_private_segment_size 0
		.amdhsa_uses_dynamic_stack 0
		.amdhsa_system_sgpr_private_segment_wavefront_offset 0
		.amdhsa_system_sgpr_workgroup_id_x 1
		.amdhsa_system_sgpr_workgroup_id_y 0
		.amdhsa_system_sgpr_workgroup_id_z 0
		.amdhsa_system_sgpr_workgroup_info 0
		.amdhsa_system_vgpr_workitem_id 0
		.amdhsa_next_free_vgpr 6
		.amdhsa_next_free_sgpr 7
		.amdhsa_reserve_vcc 1
		.amdhsa_reserve_flat_scratch 0
		.amdhsa_float_round_mode_32 0
		.amdhsa_float_round_mode_16_64 0
		.amdhsa_float_denorm_mode_32 3
		.amdhsa_float_denorm_mode_16_64 3
		.amdhsa_dx10_clamp 1
		.amdhsa_ieee_mode 1
		.amdhsa_fp16_overflow 0
		.amdhsa_exception_fp_ieee_invalid_op 0
		.amdhsa_exception_fp_denorm_src 0
		.amdhsa_exception_fp_ieee_div_zero 0
		.amdhsa_exception_fp_ieee_overflow 0
		.amdhsa_exception_fp_ieee_underflow 0
		.amdhsa_exception_fp_ieee_inexact 0
		.amdhsa_exception_int_div_zero 0
	.end_amdhsa_kernel
	.section	.text._Z25warp_store_guarded_kernelILj1024ELj4ELj1ELN7rocprim17ROCPRIM_304000_NS17warp_store_methodE1E12hip_bfloat16EvPT3_S5_i,"axG",@progbits,_Z25warp_store_guarded_kernelILj1024ELj4ELj1ELN7rocprim17ROCPRIM_304000_NS17warp_store_methodE1E12hip_bfloat16EvPT3_S5_i,comdat
.Lfunc_end42:
	.size	_Z25warp_store_guarded_kernelILj1024ELj4ELj1ELN7rocprim17ROCPRIM_304000_NS17warp_store_methodE1E12hip_bfloat16EvPT3_S5_i, .Lfunc_end42-_Z25warp_store_guarded_kernelILj1024ELj4ELj1ELN7rocprim17ROCPRIM_304000_NS17warp_store_methodE1E12hip_bfloat16EvPT3_S5_i
                                        ; -- End function
	.set _Z25warp_store_guarded_kernelILj1024ELj4ELj1ELN7rocprim17ROCPRIM_304000_NS17warp_store_methodE1E12hip_bfloat16EvPT3_S5_i.num_vgpr, 6
	.set _Z25warp_store_guarded_kernelILj1024ELj4ELj1ELN7rocprim17ROCPRIM_304000_NS17warp_store_methodE1E12hip_bfloat16EvPT3_S5_i.num_agpr, 0
	.set _Z25warp_store_guarded_kernelILj1024ELj4ELj1ELN7rocprim17ROCPRIM_304000_NS17warp_store_methodE1E12hip_bfloat16EvPT3_S5_i.numbered_sgpr, 7
	.set _Z25warp_store_guarded_kernelILj1024ELj4ELj1ELN7rocprim17ROCPRIM_304000_NS17warp_store_methodE1E12hip_bfloat16EvPT3_S5_i.num_named_barrier, 0
	.set _Z25warp_store_guarded_kernelILj1024ELj4ELj1ELN7rocprim17ROCPRIM_304000_NS17warp_store_methodE1E12hip_bfloat16EvPT3_S5_i.private_seg_size, 0
	.set _Z25warp_store_guarded_kernelILj1024ELj4ELj1ELN7rocprim17ROCPRIM_304000_NS17warp_store_methodE1E12hip_bfloat16EvPT3_S5_i.uses_vcc, 1
	.set _Z25warp_store_guarded_kernelILj1024ELj4ELj1ELN7rocprim17ROCPRIM_304000_NS17warp_store_methodE1E12hip_bfloat16EvPT3_S5_i.uses_flat_scratch, 0
	.set _Z25warp_store_guarded_kernelILj1024ELj4ELj1ELN7rocprim17ROCPRIM_304000_NS17warp_store_methodE1E12hip_bfloat16EvPT3_S5_i.has_dyn_sized_stack, 0
	.set _Z25warp_store_guarded_kernelILj1024ELj4ELj1ELN7rocprim17ROCPRIM_304000_NS17warp_store_methodE1E12hip_bfloat16EvPT3_S5_i.has_recursion, 0
	.set _Z25warp_store_guarded_kernelILj1024ELj4ELj1ELN7rocprim17ROCPRIM_304000_NS17warp_store_methodE1E12hip_bfloat16EvPT3_S5_i.has_indirect_call, 0
	.section	.AMDGPU.csdata,"",@progbits
; Kernel info:
; codeLenInByte = 176
; TotalNumSgprs: 11
; NumVgprs: 6
; ScratchSize: 0
; MemoryBound: 0
; FloatMode: 240
; IeeeMode: 1
; LDSByteSize: 0 bytes/workgroup (compile time only)
; SGPRBlocks: 1
; VGPRBlocks: 1
; NumSGPRsForWavesPerEU: 11
; NumVGPRsForWavesPerEU: 6
; Occupancy: 10
; WaveLimiterHint : 0
; COMPUTE_PGM_RSRC2:SCRATCH_EN: 0
; COMPUTE_PGM_RSRC2:USER_SGPR: 6
; COMPUTE_PGM_RSRC2:TRAP_HANDLER: 0
; COMPUTE_PGM_RSRC2:TGID_X_EN: 1
; COMPUTE_PGM_RSRC2:TGID_Y_EN: 0
; COMPUTE_PGM_RSRC2:TGID_Z_EN: 0
; COMPUTE_PGM_RSRC2:TIDIG_COMP_CNT: 0
	.section	.text._Z25warp_store_guarded_kernelILj1024ELj4ELj1ELN7rocprim17ROCPRIM_304000_NS17warp_store_methodE0E12hip_bfloat16EvPT3_S5_i,"axG",@progbits,_Z25warp_store_guarded_kernelILj1024ELj4ELj1ELN7rocprim17ROCPRIM_304000_NS17warp_store_methodE0E12hip_bfloat16EvPT3_S5_i,comdat
	.protected	_Z25warp_store_guarded_kernelILj1024ELj4ELj1ELN7rocprim17ROCPRIM_304000_NS17warp_store_methodE0E12hip_bfloat16EvPT3_S5_i ; -- Begin function _Z25warp_store_guarded_kernelILj1024ELj4ELj1ELN7rocprim17ROCPRIM_304000_NS17warp_store_methodE0E12hip_bfloat16EvPT3_S5_i
	.globl	_Z25warp_store_guarded_kernelILj1024ELj4ELj1ELN7rocprim17ROCPRIM_304000_NS17warp_store_methodE0E12hip_bfloat16EvPT3_S5_i
	.p2align	8
	.type	_Z25warp_store_guarded_kernelILj1024ELj4ELj1ELN7rocprim17ROCPRIM_304000_NS17warp_store_methodE0E12hip_bfloat16EvPT3_S5_i,@function
_Z25warp_store_guarded_kernelILj1024ELj4ELj1ELN7rocprim17ROCPRIM_304000_NS17warp_store_methodE0E12hip_bfloat16EvPT3_S5_i: ; @_Z25warp_store_guarded_kernelILj1024ELj4ELj1ELN7rocprim17ROCPRIM_304000_NS17warp_store_methodE0E12hip_bfloat16EvPT3_S5_i
; %bb.0:
	s_load_dwordx4 s[0:3], s[4:5], 0x0
	s_load_dword s6, s[4:5], 0x10
	v_lshlrev_b32_e32 v4, 3, v0
	s_waitcnt lgkmcnt(0)
	global_load_dword v3, v4, s[0:1] offset:2
	global_load_ushort v2, v4, s[0:1] offset:6
	v_mov_b32_e32 v1, s3
	v_add_co_u32_e32 v0, vcc, s2, v4
	s_cmp_eq_u32 s6, 0
	v_addc_co_u32_e32 v1, vcc, 0, v1, vcc
	s_cbranch_scc1 .LBB43_2
; %bb.1:
	v_mov_b32_e32 v5, s1
	v_add_co_u32_e32 v4, vcc, s0, v4
	v_addc_co_u32_e32 v5, vcc, 0, v5, vcc
	global_load_ushort v4, v[4:5], off
	s_waitcnt vmcnt(0)
	global_store_short v[0:1], v4, off
.LBB43_2:
	s_cmp_lt_u32 s6, 2
	s_cbranch_scc0 .LBB43_6
; %bb.3:
	s_cmp_lt_u32 s6, 3
	s_cbranch_scc0 .LBB43_7
.LBB43_4:
	s_cmp_lt_u32 s6, 4
	s_cbranch_scc0 .LBB43_8
.LBB43_5:
	s_endpgm
.LBB43_6:
	s_waitcnt vmcnt(1)
	global_store_short v[0:1], v3, off offset:2
	s_cmp_lt_u32 s6, 3
	s_cbranch_scc1 .LBB43_4
.LBB43_7:
	s_waitcnt vmcnt(1)
	global_store_short_d16_hi v[0:1], v3, off offset:4
	s_cmp_lt_u32 s6, 4
	s_cbranch_scc1 .LBB43_5
.LBB43_8:
	s_waitcnt vmcnt(0)
	global_store_short v[0:1], v2, off offset:6
	s_endpgm
	.section	.rodata,"a",@progbits
	.p2align	6, 0x0
	.amdhsa_kernel _Z25warp_store_guarded_kernelILj1024ELj4ELj1ELN7rocprim17ROCPRIM_304000_NS17warp_store_methodE0E12hip_bfloat16EvPT3_S5_i
		.amdhsa_group_segment_fixed_size 0
		.amdhsa_private_segment_fixed_size 0
		.amdhsa_kernarg_size 20
		.amdhsa_user_sgpr_count 6
		.amdhsa_user_sgpr_private_segment_buffer 1
		.amdhsa_user_sgpr_dispatch_ptr 0
		.amdhsa_user_sgpr_queue_ptr 0
		.amdhsa_user_sgpr_kernarg_segment_ptr 1
		.amdhsa_user_sgpr_dispatch_id 0
		.amdhsa_user_sgpr_flat_scratch_init 0
		.amdhsa_user_sgpr_private_segment_size 0
		.amdhsa_uses_dynamic_stack 0
		.amdhsa_system_sgpr_private_segment_wavefront_offset 0
		.amdhsa_system_sgpr_workgroup_id_x 1
		.amdhsa_system_sgpr_workgroup_id_y 0
		.amdhsa_system_sgpr_workgroup_id_z 0
		.amdhsa_system_sgpr_workgroup_info 0
		.amdhsa_system_vgpr_workitem_id 0
		.amdhsa_next_free_vgpr 6
		.amdhsa_next_free_sgpr 7
		.amdhsa_reserve_vcc 1
		.amdhsa_reserve_flat_scratch 0
		.amdhsa_float_round_mode_32 0
		.amdhsa_float_round_mode_16_64 0
		.amdhsa_float_denorm_mode_32 3
		.amdhsa_float_denorm_mode_16_64 3
		.amdhsa_dx10_clamp 1
		.amdhsa_ieee_mode 1
		.amdhsa_fp16_overflow 0
		.amdhsa_exception_fp_ieee_invalid_op 0
		.amdhsa_exception_fp_denorm_src 0
		.amdhsa_exception_fp_ieee_div_zero 0
		.amdhsa_exception_fp_ieee_overflow 0
		.amdhsa_exception_fp_ieee_underflow 0
		.amdhsa_exception_fp_ieee_inexact 0
		.amdhsa_exception_int_div_zero 0
	.end_amdhsa_kernel
	.section	.text._Z25warp_store_guarded_kernelILj1024ELj4ELj1ELN7rocprim17ROCPRIM_304000_NS17warp_store_methodE0E12hip_bfloat16EvPT3_S5_i,"axG",@progbits,_Z25warp_store_guarded_kernelILj1024ELj4ELj1ELN7rocprim17ROCPRIM_304000_NS17warp_store_methodE0E12hip_bfloat16EvPT3_S5_i,comdat
.Lfunc_end43:
	.size	_Z25warp_store_guarded_kernelILj1024ELj4ELj1ELN7rocprim17ROCPRIM_304000_NS17warp_store_methodE0E12hip_bfloat16EvPT3_S5_i, .Lfunc_end43-_Z25warp_store_guarded_kernelILj1024ELj4ELj1ELN7rocprim17ROCPRIM_304000_NS17warp_store_methodE0E12hip_bfloat16EvPT3_S5_i
                                        ; -- End function
	.set _Z25warp_store_guarded_kernelILj1024ELj4ELj1ELN7rocprim17ROCPRIM_304000_NS17warp_store_methodE0E12hip_bfloat16EvPT3_S5_i.num_vgpr, 6
	.set _Z25warp_store_guarded_kernelILj1024ELj4ELj1ELN7rocprim17ROCPRIM_304000_NS17warp_store_methodE0E12hip_bfloat16EvPT3_S5_i.num_agpr, 0
	.set _Z25warp_store_guarded_kernelILj1024ELj4ELj1ELN7rocprim17ROCPRIM_304000_NS17warp_store_methodE0E12hip_bfloat16EvPT3_S5_i.numbered_sgpr, 7
	.set _Z25warp_store_guarded_kernelILj1024ELj4ELj1ELN7rocprim17ROCPRIM_304000_NS17warp_store_methodE0E12hip_bfloat16EvPT3_S5_i.num_named_barrier, 0
	.set _Z25warp_store_guarded_kernelILj1024ELj4ELj1ELN7rocprim17ROCPRIM_304000_NS17warp_store_methodE0E12hip_bfloat16EvPT3_S5_i.private_seg_size, 0
	.set _Z25warp_store_guarded_kernelILj1024ELj4ELj1ELN7rocprim17ROCPRIM_304000_NS17warp_store_methodE0E12hip_bfloat16EvPT3_S5_i.uses_vcc, 1
	.set _Z25warp_store_guarded_kernelILj1024ELj4ELj1ELN7rocprim17ROCPRIM_304000_NS17warp_store_methodE0E12hip_bfloat16EvPT3_S5_i.uses_flat_scratch, 0
	.set _Z25warp_store_guarded_kernelILj1024ELj4ELj1ELN7rocprim17ROCPRIM_304000_NS17warp_store_methodE0E12hip_bfloat16EvPT3_S5_i.has_dyn_sized_stack, 0
	.set _Z25warp_store_guarded_kernelILj1024ELj4ELj1ELN7rocprim17ROCPRIM_304000_NS17warp_store_methodE0E12hip_bfloat16EvPT3_S5_i.has_recursion, 0
	.set _Z25warp_store_guarded_kernelILj1024ELj4ELj1ELN7rocprim17ROCPRIM_304000_NS17warp_store_methodE0E12hip_bfloat16EvPT3_S5_i.has_indirect_call, 0
	.section	.AMDGPU.csdata,"",@progbits
; Kernel info:
; codeLenInByte = 176
; TotalNumSgprs: 11
; NumVgprs: 6
; ScratchSize: 0
; MemoryBound: 0
; FloatMode: 240
; IeeeMode: 1
; LDSByteSize: 0 bytes/workgroup (compile time only)
; SGPRBlocks: 1
; VGPRBlocks: 1
; NumSGPRsForWavesPerEU: 11
; NumVGPRsForWavesPerEU: 6
; Occupancy: 10
; WaveLimiterHint : 0
; COMPUTE_PGM_RSRC2:SCRATCH_EN: 0
; COMPUTE_PGM_RSRC2:USER_SGPR: 6
; COMPUTE_PGM_RSRC2:TRAP_HANDLER: 0
; COMPUTE_PGM_RSRC2:TGID_X_EN: 1
; COMPUTE_PGM_RSRC2:TGID_Y_EN: 0
; COMPUTE_PGM_RSRC2:TGID_Z_EN: 0
; COMPUTE_PGM_RSRC2:TIDIG_COMP_CNT: 0
	.section	.text._Z25warp_store_guarded_kernelILj1024ELj4ELj1ELN7rocprim17ROCPRIM_304000_NS17warp_store_methodE3EdEvPT3_S4_i,"axG",@progbits,_Z25warp_store_guarded_kernelILj1024ELj4ELj1ELN7rocprim17ROCPRIM_304000_NS17warp_store_methodE3EdEvPT3_S4_i,comdat
	.protected	_Z25warp_store_guarded_kernelILj1024ELj4ELj1ELN7rocprim17ROCPRIM_304000_NS17warp_store_methodE3EdEvPT3_S4_i ; -- Begin function _Z25warp_store_guarded_kernelILj1024ELj4ELj1ELN7rocprim17ROCPRIM_304000_NS17warp_store_methodE3EdEvPT3_S4_i
	.globl	_Z25warp_store_guarded_kernelILj1024ELj4ELj1ELN7rocprim17ROCPRIM_304000_NS17warp_store_methodE3EdEvPT3_S4_i
	.p2align	8
	.type	_Z25warp_store_guarded_kernelILj1024ELj4ELj1ELN7rocprim17ROCPRIM_304000_NS17warp_store_methodE3EdEvPT3_S4_i,@function
_Z25warp_store_guarded_kernelILj1024ELj4ELj1ELN7rocprim17ROCPRIM_304000_NS17warp_store_methodE3EdEvPT3_S4_i: ; @_Z25warp_store_guarded_kernelILj1024ELj4ELj1ELN7rocprim17ROCPRIM_304000_NS17warp_store_methodE3EdEvPT3_S4_i
; %bb.0:
	s_load_dwordx4 s[8:11], s[4:5], 0x0
	s_load_dword s0, s[4:5], 0x10
	v_lshlrev_b32_e32 v6, 5, v0
	s_waitcnt lgkmcnt(0)
	global_load_dwordx4 v[0:3], v6, s[8:9]
	global_load_dwordx4 v[7:10], v6, s[8:9] offset:16
	v_mov_b32_e32 v5, s11
	v_add_co_u32_e32 v4, vcc, s10, v6
	s_cmp_eq_u32 s0, 0
	v_addc_co_u32_e32 v5, vcc, 0, v5, vcc
	s_waitcnt vmcnt(1)
	ds_write_b128 v6, v[0:3]
	s_waitcnt vmcnt(0)
	ds_write_b128 v6, v[7:10] offset:16
	; wave barrier
	s_cbranch_scc1 .LBB44_2
; %bb.1:
	ds_read_b64 v[0:1], v6
	s_waitcnt lgkmcnt(0)
	global_store_dwordx2 v[4:5], v[0:1], off
.LBB44_2:
	ds_read2_b64 v[0:3], v6 offset0:1 offset1:2
	s_cmp_lt_u32 s0, 2
	s_cbranch_scc0 .LBB44_6
; %bb.3:
	s_cmp_lt_u32 s0, 3
	s_cbranch_scc0 .LBB44_7
.LBB44_4:
	s_cmp_lt_u32 s0, 4
	s_cbranch_scc0 .LBB44_8
.LBB44_5:
	s_endpgm
.LBB44_6:
	s_waitcnt lgkmcnt(0)
	global_store_dwordx2 v[4:5], v[0:1], off offset:8
	s_cmp_lt_u32 s0, 3
	s_cbranch_scc1 .LBB44_4
.LBB44_7:
	s_waitcnt lgkmcnt(0)
	global_store_dwordx2 v[4:5], v[2:3], off offset:16
	s_cmp_lt_u32 s0, 4
	s_cbranch_scc1 .LBB44_5
.LBB44_8:
	s_waitcnt lgkmcnt(0)
	ds_read_b64 v[0:1], v6 offset:24
	s_waitcnt lgkmcnt(0)
	global_store_dwordx2 v[4:5], v[0:1], off offset:24
	s_endpgm
	.section	.rodata,"a",@progbits
	.p2align	6, 0x0
	.amdhsa_kernel _Z25warp_store_guarded_kernelILj1024ELj4ELj1ELN7rocprim17ROCPRIM_304000_NS17warp_store_methodE3EdEvPT3_S4_i
		.amdhsa_group_segment_fixed_size 32768
		.amdhsa_private_segment_fixed_size 0
		.amdhsa_kernarg_size 20
		.amdhsa_user_sgpr_count 6
		.amdhsa_user_sgpr_private_segment_buffer 1
		.amdhsa_user_sgpr_dispatch_ptr 0
		.amdhsa_user_sgpr_queue_ptr 0
		.amdhsa_user_sgpr_kernarg_segment_ptr 1
		.amdhsa_user_sgpr_dispatch_id 0
		.amdhsa_user_sgpr_flat_scratch_init 0
		.amdhsa_user_sgpr_private_segment_size 0
		.amdhsa_uses_dynamic_stack 0
		.amdhsa_system_sgpr_private_segment_wavefront_offset 0
		.amdhsa_system_sgpr_workgroup_id_x 1
		.amdhsa_system_sgpr_workgroup_id_y 0
		.amdhsa_system_sgpr_workgroup_id_z 0
		.amdhsa_system_sgpr_workgroup_info 0
		.amdhsa_system_vgpr_workitem_id 0
		.amdhsa_next_free_vgpr 29
		.amdhsa_next_free_sgpr 61
		.amdhsa_reserve_vcc 1
		.amdhsa_reserve_flat_scratch 0
		.amdhsa_float_round_mode_32 0
		.amdhsa_float_round_mode_16_64 0
		.amdhsa_float_denorm_mode_32 3
		.amdhsa_float_denorm_mode_16_64 3
		.amdhsa_dx10_clamp 1
		.amdhsa_ieee_mode 1
		.amdhsa_fp16_overflow 0
		.amdhsa_exception_fp_ieee_invalid_op 0
		.amdhsa_exception_fp_denorm_src 0
		.amdhsa_exception_fp_ieee_div_zero 0
		.amdhsa_exception_fp_ieee_overflow 0
		.amdhsa_exception_fp_ieee_underflow 0
		.amdhsa_exception_fp_ieee_inexact 0
		.amdhsa_exception_int_div_zero 0
	.end_amdhsa_kernel
	.section	.text._Z25warp_store_guarded_kernelILj1024ELj4ELj1ELN7rocprim17ROCPRIM_304000_NS17warp_store_methodE3EdEvPT3_S4_i,"axG",@progbits,_Z25warp_store_guarded_kernelILj1024ELj4ELj1ELN7rocprim17ROCPRIM_304000_NS17warp_store_methodE3EdEvPT3_S4_i,comdat
.Lfunc_end44:
	.size	_Z25warp_store_guarded_kernelILj1024ELj4ELj1ELN7rocprim17ROCPRIM_304000_NS17warp_store_methodE3EdEvPT3_S4_i, .Lfunc_end44-_Z25warp_store_guarded_kernelILj1024ELj4ELj1ELN7rocprim17ROCPRIM_304000_NS17warp_store_methodE3EdEvPT3_S4_i
                                        ; -- End function
	.set _Z25warp_store_guarded_kernelILj1024ELj4ELj1ELN7rocprim17ROCPRIM_304000_NS17warp_store_methodE3EdEvPT3_S4_i.num_vgpr, 11
	.set _Z25warp_store_guarded_kernelILj1024ELj4ELj1ELN7rocprim17ROCPRIM_304000_NS17warp_store_methodE3EdEvPT3_S4_i.num_agpr, 0
	.set _Z25warp_store_guarded_kernelILj1024ELj4ELj1ELN7rocprim17ROCPRIM_304000_NS17warp_store_methodE3EdEvPT3_S4_i.numbered_sgpr, 12
	.set _Z25warp_store_guarded_kernelILj1024ELj4ELj1ELN7rocprim17ROCPRIM_304000_NS17warp_store_methodE3EdEvPT3_S4_i.num_named_barrier, 0
	.set _Z25warp_store_guarded_kernelILj1024ELj4ELj1ELN7rocprim17ROCPRIM_304000_NS17warp_store_methodE3EdEvPT3_S4_i.private_seg_size, 0
	.set _Z25warp_store_guarded_kernelILj1024ELj4ELj1ELN7rocprim17ROCPRIM_304000_NS17warp_store_methodE3EdEvPT3_S4_i.uses_vcc, 1
	.set _Z25warp_store_guarded_kernelILj1024ELj4ELj1ELN7rocprim17ROCPRIM_304000_NS17warp_store_methodE3EdEvPT3_S4_i.uses_flat_scratch, 0
	.set _Z25warp_store_guarded_kernelILj1024ELj4ELj1ELN7rocprim17ROCPRIM_304000_NS17warp_store_methodE3EdEvPT3_S4_i.has_dyn_sized_stack, 0
	.set _Z25warp_store_guarded_kernelILj1024ELj4ELj1ELN7rocprim17ROCPRIM_304000_NS17warp_store_methodE3EdEvPT3_S4_i.has_recursion, 0
	.set _Z25warp_store_guarded_kernelILj1024ELj4ELj1ELN7rocprim17ROCPRIM_304000_NS17warp_store_methodE3EdEvPT3_S4_i.has_indirect_call, 0
	.section	.AMDGPU.csdata,"",@progbits
; Kernel info:
; codeLenInByte = 208
; TotalNumSgprs: 16
; NumVgprs: 11
; ScratchSize: 0
; MemoryBound: 1
; FloatMode: 240
; IeeeMode: 1
; LDSByteSize: 32768 bytes/workgroup (compile time only)
; SGPRBlocks: 8
; VGPRBlocks: 7
; NumSGPRsForWavesPerEU: 65
; NumVGPRsForWavesPerEU: 29
; Occupancy: 8
; WaveLimiterHint : 1
; COMPUTE_PGM_RSRC2:SCRATCH_EN: 0
; COMPUTE_PGM_RSRC2:USER_SGPR: 6
; COMPUTE_PGM_RSRC2:TRAP_HANDLER: 0
; COMPUTE_PGM_RSRC2:TGID_X_EN: 1
; COMPUTE_PGM_RSRC2:TGID_Y_EN: 0
; COMPUTE_PGM_RSRC2:TGID_Z_EN: 0
; COMPUTE_PGM_RSRC2:TIDIG_COMP_CNT: 0
	.section	.text._Z25warp_store_guarded_kernelILj1024ELj4ELj1ELN7rocprim17ROCPRIM_304000_NS17warp_store_methodE2EdEvPT3_S4_i,"axG",@progbits,_Z25warp_store_guarded_kernelILj1024ELj4ELj1ELN7rocprim17ROCPRIM_304000_NS17warp_store_methodE2EdEvPT3_S4_i,comdat
	.protected	_Z25warp_store_guarded_kernelILj1024ELj4ELj1ELN7rocprim17ROCPRIM_304000_NS17warp_store_methodE2EdEvPT3_S4_i ; -- Begin function _Z25warp_store_guarded_kernelILj1024ELj4ELj1ELN7rocprim17ROCPRIM_304000_NS17warp_store_methodE2EdEvPT3_S4_i
	.globl	_Z25warp_store_guarded_kernelILj1024ELj4ELj1ELN7rocprim17ROCPRIM_304000_NS17warp_store_methodE2EdEvPT3_S4_i
	.p2align	8
	.type	_Z25warp_store_guarded_kernelILj1024ELj4ELj1ELN7rocprim17ROCPRIM_304000_NS17warp_store_methodE2EdEvPT3_S4_i,@function
_Z25warp_store_guarded_kernelILj1024ELj4ELj1ELN7rocprim17ROCPRIM_304000_NS17warp_store_methodE2EdEvPT3_S4_i: ; @_Z25warp_store_guarded_kernelILj1024ELj4ELj1ELN7rocprim17ROCPRIM_304000_NS17warp_store_methodE2EdEvPT3_S4_i
; %bb.0:
	s_load_dwordx4 s[0:3], s[4:5], 0x0
	s_load_dword s6, s[4:5], 0x10
	v_lshlrev_b32_e32 v8, 5, v0
	s_waitcnt lgkmcnt(0)
	global_load_dwordx2 v[4:5], v8, s[0:1] offset:24
	global_load_dwordx4 v[0:3], v8, s[0:1] offset:8
	v_mov_b32_e32 v7, s3
	v_add_co_u32_e32 v6, vcc, s2, v8
	s_cmp_eq_u32 s6, 0
	v_addc_co_u32_e32 v7, vcc, 0, v7, vcc
	s_cbranch_scc1 .LBB45_2
; %bb.1:
	v_mov_b32_e32 v9, s1
	v_add_co_u32_e32 v8, vcc, s0, v8
	v_addc_co_u32_e32 v9, vcc, 0, v9, vcc
	global_load_dwordx2 v[8:9], v[8:9], off
	s_waitcnt vmcnt(0)
	global_store_dwordx2 v[6:7], v[8:9], off
.LBB45_2:
	s_cmp_lt_u32 s6, 2
	s_cbranch_scc0 .LBB45_6
; %bb.3:
	s_cmp_lt_u32 s6, 3
	s_cbranch_scc0 .LBB45_7
.LBB45_4:
	s_cmp_lt_u32 s6, 4
	s_cbranch_scc0 .LBB45_8
.LBB45_5:
	s_endpgm
.LBB45_6:
	s_waitcnt vmcnt(0)
	global_store_dwordx2 v[6:7], v[0:1], off offset:8
	s_cmp_lt_u32 s6, 3
	s_cbranch_scc1 .LBB45_4
.LBB45_7:
	s_waitcnt vmcnt(0)
	global_store_dwordx2 v[6:7], v[2:3], off offset:16
	s_cmp_lt_u32 s6, 4
	s_cbranch_scc1 .LBB45_5
.LBB45_8:
	s_waitcnt vmcnt(1)
	global_store_dwordx2 v[6:7], v[4:5], off offset:24
	s_endpgm
	.section	.rodata,"a",@progbits
	.p2align	6, 0x0
	.amdhsa_kernel _Z25warp_store_guarded_kernelILj1024ELj4ELj1ELN7rocprim17ROCPRIM_304000_NS17warp_store_methodE2EdEvPT3_S4_i
		.amdhsa_group_segment_fixed_size 0
		.amdhsa_private_segment_fixed_size 0
		.amdhsa_kernarg_size 20
		.amdhsa_user_sgpr_count 6
		.amdhsa_user_sgpr_private_segment_buffer 1
		.amdhsa_user_sgpr_dispatch_ptr 0
		.amdhsa_user_sgpr_queue_ptr 0
		.amdhsa_user_sgpr_kernarg_segment_ptr 1
		.amdhsa_user_sgpr_dispatch_id 0
		.amdhsa_user_sgpr_flat_scratch_init 0
		.amdhsa_user_sgpr_private_segment_size 0
		.amdhsa_uses_dynamic_stack 0
		.amdhsa_system_sgpr_private_segment_wavefront_offset 0
		.amdhsa_system_sgpr_workgroup_id_x 1
		.amdhsa_system_sgpr_workgroup_id_y 0
		.amdhsa_system_sgpr_workgroup_id_z 0
		.amdhsa_system_sgpr_workgroup_info 0
		.amdhsa_system_vgpr_workitem_id 0
		.amdhsa_next_free_vgpr 10
		.amdhsa_next_free_sgpr 7
		.amdhsa_reserve_vcc 1
		.amdhsa_reserve_flat_scratch 0
		.amdhsa_float_round_mode_32 0
		.amdhsa_float_round_mode_16_64 0
		.amdhsa_float_denorm_mode_32 3
		.amdhsa_float_denorm_mode_16_64 3
		.amdhsa_dx10_clamp 1
		.amdhsa_ieee_mode 1
		.amdhsa_fp16_overflow 0
		.amdhsa_exception_fp_ieee_invalid_op 0
		.amdhsa_exception_fp_denorm_src 0
		.amdhsa_exception_fp_ieee_div_zero 0
		.amdhsa_exception_fp_ieee_overflow 0
		.amdhsa_exception_fp_ieee_underflow 0
		.amdhsa_exception_fp_ieee_inexact 0
		.amdhsa_exception_int_div_zero 0
	.end_amdhsa_kernel
	.section	.text._Z25warp_store_guarded_kernelILj1024ELj4ELj1ELN7rocprim17ROCPRIM_304000_NS17warp_store_methodE2EdEvPT3_S4_i,"axG",@progbits,_Z25warp_store_guarded_kernelILj1024ELj4ELj1ELN7rocprim17ROCPRIM_304000_NS17warp_store_methodE2EdEvPT3_S4_i,comdat
.Lfunc_end45:
	.size	_Z25warp_store_guarded_kernelILj1024ELj4ELj1ELN7rocprim17ROCPRIM_304000_NS17warp_store_methodE2EdEvPT3_S4_i, .Lfunc_end45-_Z25warp_store_guarded_kernelILj1024ELj4ELj1ELN7rocprim17ROCPRIM_304000_NS17warp_store_methodE2EdEvPT3_S4_i
                                        ; -- End function
	.set _Z25warp_store_guarded_kernelILj1024ELj4ELj1ELN7rocprim17ROCPRIM_304000_NS17warp_store_methodE2EdEvPT3_S4_i.num_vgpr, 10
	.set _Z25warp_store_guarded_kernelILj1024ELj4ELj1ELN7rocprim17ROCPRIM_304000_NS17warp_store_methodE2EdEvPT3_S4_i.num_agpr, 0
	.set _Z25warp_store_guarded_kernelILj1024ELj4ELj1ELN7rocprim17ROCPRIM_304000_NS17warp_store_methodE2EdEvPT3_S4_i.numbered_sgpr, 7
	.set _Z25warp_store_guarded_kernelILj1024ELj4ELj1ELN7rocprim17ROCPRIM_304000_NS17warp_store_methodE2EdEvPT3_S4_i.num_named_barrier, 0
	.set _Z25warp_store_guarded_kernelILj1024ELj4ELj1ELN7rocprim17ROCPRIM_304000_NS17warp_store_methodE2EdEvPT3_S4_i.private_seg_size, 0
	.set _Z25warp_store_guarded_kernelILj1024ELj4ELj1ELN7rocprim17ROCPRIM_304000_NS17warp_store_methodE2EdEvPT3_S4_i.uses_vcc, 1
	.set _Z25warp_store_guarded_kernelILj1024ELj4ELj1ELN7rocprim17ROCPRIM_304000_NS17warp_store_methodE2EdEvPT3_S4_i.uses_flat_scratch, 0
	.set _Z25warp_store_guarded_kernelILj1024ELj4ELj1ELN7rocprim17ROCPRIM_304000_NS17warp_store_methodE2EdEvPT3_S4_i.has_dyn_sized_stack, 0
	.set _Z25warp_store_guarded_kernelILj1024ELj4ELj1ELN7rocprim17ROCPRIM_304000_NS17warp_store_methodE2EdEvPT3_S4_i.has_recursion, 0
	.set _Z25warp_store_guarded_kernelILj1024ELj4ELj1ELN7rocprim17ROCPRIM_304000_NS17warp_store_methodE2EdEvPT3_S4_i.has_indirect_call, 0
	.section	.AMDGPU.csdata,"",@progbits
; Kernel info:
; codeLenInByte = 176
; TotalNumSgprs: 11
; NumVgprs: 10
; ScratchSize: 0
; MemoryBound: 1
; FloatMode: 240
; IeeeMode: 1
; LDSByteSize: 0 bytes/workgroup (compile time only)
; SGPRBlocks: 1
; VGPRBlocks: 2
; NumSGPRsForWavesPerEU: 11
; NumVGPRsForWavesPerEU: 10
; Occupancy: 10
; WaveLimiterHint : 0
; COMPUTE_PGM_RSRC2:SCRATCH_EN: 0
; COMPUTE_PGM_RSRC2:USER_SGPR: 6
; COMPUTE_PGM_RSRC2:TRAP_HANDLER: 0
; COMPUTE_PGM_RSRC2:TGID_X_EN: 1
; COMPUTE_PGM_RSRC2:TGID_Y_EN: 0
; COMPUTE_PGM_RSRC2:TGID_Z_EN: 0
; COMPUTE_PGM_RSRC2:TIDIG_COMP_CNT: 0
	.section	.text._Z25warp_store_guarded_kernelILj1024ELj4ELj1ELN7rocprim17ROCPRIM_304000_NS17warp_store_methodE1EdEvPT3_S4_i,"axG",@progbits,_Z25warp_store_guarded_kernelILj1024ELj4ELj1ELN7rocprim17ROCPRIM_304000_NS17warp_store_methodE1EdEvPT3_S4_i,comdat
	.protected	_Z25warp_store_guarded_kernelILj1024ELj4ELj1ELN7rocprim17ROCPRIM_304000_NS17warp_store_methodE1EdEvPT3_S4_i ; -- Begin function _Z25warp_store_guarded_kernelILj1024ELj4ELj1ELN7rocprim17ROCPRIM_304000_NS17warp_store_methodE1EdEvPT3_S4_i
	.globl	_Z25warp_store_guarded_kernelILj1024ELj4ELj1ELN7rocprim17ROCPRIM_304000_NS17warp_store_methodE1EdEvPT3_S4_i
	.p2align	8
	.type	_Z25warp_store_guarded_kernelILj1024ELj4ELj1ELN7rocprim17ROCPRIM_304000_NS17warp_store_methodE1EdEvPT3_S4_i,@function
_Z25warp_store_guarded_kernelILj1024ELj4ELj1ELN7rocprim17ROCPRIM_304000_NS17warp_store_methodE1EdEvPT3_S4_i: ; @_Z25warp_store_guarded_kernelILj1024ELj4ELj1ELN7rocprim17ROCPRIM_304000_NS17warp_store_methodE1EdEvPT3_S4_i
; %bb.0:
	s_load_dwordx4 s[0:3], s[4:5], 0x0
	s_load_dword s6, s[4:5], 0x10
	v_lshlrev_b32_e32 v8, 5, v0
	s_waitcnt lgkmcnt(0)
	global_load_dwordx2 v[4:5], v8, s[0:1] offset:24
	global_load_dwordx4 v[0:3], v8, s[0:1] offset:8
	v_mov_b32_e32 v7, s3
	v_add_co_u32_e32 v6, vcc, s2, v8
	s_cmp_eq_u32 s6, 0
	v_addc_co_u32_e32 v7, vcc, 0, v7, vcc
	s_cbranch_scc1 .LBB46_2
; %bb.1:
	v_mov_b32_e32 v9, s1
	v_add_co_u32_e32 v8, vcc, s0, v8
	v_addc_co_u32_e32 v9, vcc, 0, v9, vcc
	global_load_dwordx2 v[8:9], v[8:9], off
	s_waitcnt vmcnt(0)
	global_store_dwordx2 v[6:7], v[8:9], off
.LBB46_2:
	s_cmp_lt_u32 s6, 2
	s_cbranch_scc0 .LBB46_6
; %bb.3:
	s_cmp_lt_u32 s6, 3
	s_cbranch_scc0 .LBB46_7
.LBB46_4:
	s_cmp_lt_u32 s6, 4
	s_cbranch_scc0 .LBB46_8
.LBB46_5:
	s_endpgm
.LBB46_6:
	s_waitcnt vmcnt(0)
	global_store_dwordx2 v[6:7], v[0:1], off offset:8
	s_cmp_lt_u32 s6, 3
	s_cbranch_scc1 .LBB46_4
.LBB46_7:
	s_waitcnt vmcnt(0)
	global_store_dwordx2 v[6:7], v[2:3], off offset:16
	s_cmp_lt_u32 s6, 4
	s_cbranch_scc1 .LBB46_5
.LBB46_8:
	s_waitcnt vmcnt(1)
	global_store_dwordx2 v[6:7], v[4:5], off offset:24
	s_endpgm
	.section	.rodata,"a",@progbits
	.p2align	6, 0x0
	.amdhsa_kernel _Z25warp_store_guarded_kernelILj1024ELj4ELj1ELN7rocprim17ROCPRIM_304000_NS17warp_store_methodE1EdEvPT3_S4_i
		.amdhsa_group_segment_fixed_size 0
		.amdhsa_private_segment_fixed_size 0
		.amdhsa_kernarg_size 20
		.amdhsa_user_sgpr_count 6
		.amdhsa_user_sgpr_private_segment_buffer 1
		.amdhsa_user_sgpr_dispatch_ptr 0
		.amdhsa_user_sgpr_queue_ptr 0
		.amdhsa_user_sgpr_kernarg_segment_ptr 1
		.amdhsa_user_sgpr_dispatch_id 0
		.amdhsa_user_sgpr_flat_scratch_init 0
		.amdhsa_user_sgpr_private_segment_size 0
		.amdhsa_uses_dynamic_stack 0
		.amdhsa_system_sgpr_private_segment_wavefront_offset 0
		.amdhsa_system_sgpr_workgroup_id_x 1
		.amdhsa_system_sgpr_workgroup_id_y 0
		.amdhsa_system_sgpr_workgroup_id_z 0
		.amdhsa_system_sgpr_workgroup_info 0
		.amdhsa_system_vgpr_workitem_id 0
		.amdhsa_next_free_vgpr 10
		.amdhsa_next_free_sgpr 7
		.amdhsa_reserve_vcc 1
		.amdhsa_reserve_flat_scratch 0
		.amdhsa_float_round_mode_32 0
		.amdhsa_float_round_mode_16_64 0
		.amdhsa_float_denorm_mode_32 3
		.amdhsa_float_denorm_mode_16_64 3
		.amdhsa_dx10_clamp 1
		.amdhsa_ieee_mode 1
		.amdhsa_fp16_overflow 0
		.amdhsa_exception_fp_ieee_invalid_op 0
		.amdhsa_exception_fp_denorm_src 0
		.amdhsa_exception_fp_ieee_div_zero 0
		.amdhsa_exception_fp_ieee_overflow 0
		.amdhsa_exception_fp_ieee_underflow 0
		.amdhsa_exception_fp_ieee_inexact 0
		.amdhsa_exception_int_div_zero 0
	.end_amdhsa_kernel
	.section	.text._Z25warp_store_guarded_kernelILj1024ELj4ELj1ELN7rocprim17ROCPRIM_304000_NS17warp_store_methodE1EdEvPT3_S4_i,"axG",@progbits,_Z25warp_store_guarded_kernelILj1024ELj4ELj1ELN7rocprim17ROCPRIM_304000_NS17warp_store_methodE1EdEvPT3_S4_i,comdat
.Lfunc_end46:
	.size	_Z25warp_store_guarded_kernelILj1024ELj4ELj1ELN7rocprim17ROCPRIM_304000_NS17warp_store_methodE1EdEvPT3_S4_i, .Lfunc_end46-_Z25warp_store_guarded_kernelILj1024ELj4ELj1ELN7rocprim17ROCPRIM_304000_NS17warp_store_methodE1EdEvPT3_S4_i
                                        ; -- End function
	.set _Z25warp_store_guarded_kernelILj1024ELj4ELj1ELN7rocprim17ROCPRIM_304000_NS17warp_store_methodE1EdEvPT3_S4_i.num_vgpr, 10
	.set _Z25warp_store_guarded_kernelILj1024ELj4ELj1ELN7rocprim17ROCPRIM_304000_NS17warp_store_methodE1EdEvPT3_S4_i.num_agpr, 0
	.set _Z25warp_store_guarded_kernelILj1024ELj4ELj1ELN7rocprim17ROCPRIM_304000_NS17warp_store_methodE1EdEvPT3_S4_i.numbered_sgpr, 7
	.set _Z25warp_store_guarded_kernelILj1024ELj4ELj1ELN7rocprim17ROCPRIM_304000_NS17warp_store_methodE1EdEvPT3_S4_i.num_named_barrier, 0
	.set _Z25warp_store_guarded_kernelILj1024ELj4ELj1ELN7rocprim17ROCPRIM_304000_NS17warp_store_methodE1EdEvPT3_S4_i.private_seg_size, 0
	.set _Z25warp_store_guarded_kernelILj1024ELj4ELj1ELN7rocprim17ROCPRIM_304000_NS17warp_store_methodE1EdEvPT3_S4_i.uses_vcc, 1
	.set _Z25warp_store_guarded_kernelILj1024ELj4ELj1ELN7rocprim17ROCPRIM_304000_NS17warp_store_methodE1EdEvPT3_S4_i.uses_flat_scratch, 0
	.set _Z25warp_store_guarded_kernelILj1024ELj4ELj1ELN7rocprim17ROCPRIM_304000_NS17warp_store_methodE1EdEvPT3_S4_i.has_dyn_sized_stack, 0
	.set _Z25warp_store_guarded_kernelILj1024ELj4ELj1ELN7rocprim17ROCPRIM_304000_NS17warp_store_methodE1EdEvPT3_S4_i.has_recursion, 0
	.set _Z25warp_store_guarded_kernelILj1024ELj4ELj1ELN7rocprim17ROCPRIM_304000_NS17warp_store_methodE1EdEvPT3_S4_i.has_indirect_call, 0
	.section	.AMDGPU.csdata,"",@progbits
; Kernel info:
; codeLenInByte = 176
; TotalNumSgprs: 11
; NumVgprs: 10
; ScratchSize: 0
; MemoryBound: 1
; FloatMode: 240
; IeeeMode: 1
; LDSByteSize: 0 bytes/workgroup (compile time only)
; SGPRBlocks: 1
; VGPRBlocks: 2
; NumSGPRsForWavesPerEU: 11
; NumVGPRsForWavesPerEU: 10
; Occupancy: 10
; WaveLimiterHint : 0
; COMPUTE_PGM_RSRC2:SCRATCH_EN: 0
; COMPUTE_PGM_RSRC2:USER_SGPR: 6
; COMPUTE_PGM_RSRC2:TRAP_HANDLER: 0
; COMPUTE_PGM_RSRC2:TGID_X_EN: 1
; COMPUTE_PGM_RSRC2:TGID_Y_EN: 0
; COMPUTE_PGM_RSRC2:TGID_Z_EN: 0
; COMPUTE_PGM_RSRC2:TIDIG_COMP_CNT: 0
	.section	.text._Z25warp_store_guarded_kernelILj1024ELj4ELj1ELN7rocprim17ROCPRIM_304000_NS17warp_store_methodE0EdEvPT3_S4_i,"axG",@progbits,_Z25warp_store_guarded_kernelILj1024ELj4ELj1ELN7rocprim17ROCPRIM_304000_NS17warp_store_methodE0EdEvPT3_S4_i,comdat
	.protected	_Z25warp_store_guarded_kernelILj1024ELj4ELj1ELN7rocprim17ROCPRIM_304000_NS17warp_store_methodE0EdEvPT3_S4_i ; -- Begin function _Z25warp_store_guarded_kernelILj1024ELj4ELj1ELN7rocprim17ROCPRIM_304000_NS17warp_store_methodE0EdEvPT3_S4_i
	.globl	_Z25warp_store_guarded_kernelILj1024ELj4ELj1ELN7rocprim17ROCPRIM_304000_NS17warp_store_methodE0EdEvPT3_S4_i
	.p2align	8
	.type	_Z25warp_store_guarded_kernelILj1024ELj4ELj1ELN7rocprim17ROCPRIM_304000_NS17warp_store_methodE0EdEvPT3_S4_i,@function
_Z25warp_store_guarded_kernelILj1024ELj4ELj1ELN7rocprim17ROCPRIM_304000_NS17warp_store_methodE0EdEvPT3_S4_i: ; @_Z25warp_store_guarded_kernelILj1024ELj4ELj1ELN7rocprim17ROCPRIM_304000_NS17warp_store_methodE0EdEvPT3_S4_i
; %bb.0:
	s_load_dwordx4 s[0:3], s[4:5], 0x0
	s_load_dword s6, s[4:5], 0x10
	v_lshlrev_b32_e32 v8, 5, v0
	s_waitcnt lgkmcnt(0)
	global_load_dwordx2 v[4:5], v8, s[0:1] offset:24
	global_load_dwordx4 v[0:3], v8, s[0:1] offset:8
	v_mov_b32_e32 v7, s3
	v_add_co_u32_e32 v6, vcc, s2, v8
	s_cmp_eq_u32 s6, 0
	v_addc_co_u32_e32 v7, vcc, 0, v7, vcc
	s_cbranch_scc1 .LBB47_2
; %bb.1:
	v_mov_b32_e32 v9, s1
	v_add_co_u32_e32 v8, vcc, s0, v8
	v_addc_co_u32_e32 v9, vcc, 0, v9, vcc
	global_load_dwordx2 v[8:9], v[8:9], off
	s_waitcnt vmcnt(0)
	global_store_dwordx2 v[6:7], v[8:9], off
.LBB47_2:
	s_cmp_lt_u32 s6, 2
	s_cbranch_scc0 .LBB47_6
; %bb.3:
	s_cmp_lt_u32 s6, 3
	s_cbranch_scc0 .LBB47_7
.LBB47_4:
	s_cmp_lt_u32 s6, 4
	s_cbranch_scc0 .LBB47_8
.LBB47_5:
	s_endpgm
.LBB47_6:
	s_waitcnt vmcnt(0)
	global_store_dwordx2 v[6:7], v[0:1], off offset:8
	s_cmp_lt_u32 s6, 3
	s_cbranch_scc1 .LBB47_4
.LBB47_7:
	s_waitcnt vmcnt(0)
	global_store_dwordx2 v[6:7], v[2:3], off offset:16
	s_cmp_lt_u32 s6, 4
	s_cbranch_scc1 .LBB47_5
.LBB47_8:
	s_waitcnt vmcnt(1)
	global_store_dwordx2 v[6:7], v[4:5], off offset:24
	s_endpgm
	.section	.rodata,"a",@progbits
	.p2align	6, 0x0
	.amdhsa_kernel _Z25warp_store_guarded_kernelILj1024ELj4ELj1ELN7rocprim17ROCPRIM_304000_NS17warp_store_methodE0EdEvPT3_S4_i
		.amdhsa_group_segment_fixed_size 0
		.amdhsa_private_segment_fixed_size 0
		.amdhsa_kernarg_size 20
		.amdhsa_user_sgpr_count 6
		.amdhsa_user_sgpr_private_segment_buffer 1
		.amdhsa_user_sgpr_dispatch_ptr 0
		.amdhsa_user_sgpr_queue_ptr 0
		.amdhsa_user_sgpr_kernarg_segment_ptr 1
		.amdhsa_user_sgpr_dispatch_id 0
		.amdhsa_user_sgpr_flat_scratch_init 0
		.amdhsa_user_sgpr_private_segment_size 0
		.amdhsa_uses_dynamic_stack 0
		.amdhsa_system_sgpr_private_segment_wavefront_offset 0
		.amdhsa_system_sgpr_workgroup_id_x 1
		.amdhsa_system_sgpr_workgroup_id_y 0
		.amdhsa_system_sgpr_workgroup_id_z 0
		.amdhsa_system_sgpr_workgroup_info 0
		.amdhsa_system_vgpr_workitem_id 0
		.amdhsa_next_free_vgpr 10
		.amdhsa_next_free_sgpr 7
		.amdhsa_reserve_vcc 1
		.amdhsa_reserve_flat_scratch 0
		.amdhsa_float_round_mode_32 0
		.amdhsa_float_round_mode_16_64 0
		.amdhsa_float_denorm_mode_32 3
		.amdhsa_float_denorm_mode_16_64 3
		.amdhsa_dx10_clamp 1
		.amdhsa_ieee_mode 1
		.amdhsa_fp16_overflow 0
		.amdhsa_exception_fp_ieee_invalid_op 0
		.amdhsa_exception_fp_denorm_src 0
		.amdhsa_exception_fp_ieee_div_zero 0
		.amdhsa_exception_fp_ieee_overflow 0
		.amdhsa_exception_fp_ieee_underflow 0
		.amdhsa_exception_fp_ieee_inexact 0
		.amdhsa_exception_int_div_zero 0
	.end_amdhsa_kernel
	.section	.text._Z25warp_store_guarded_kernelILj1024ELj4ELj1ELN7rocprim17ROCPRIM_304000_NS17warp_store_methodE0EdEvPT3_S4_i,"axG",@progbits,_Z25warp_store_guarded_kernelILj1024ELj4ELj1ELN7rocprim17ROCPRIM_304000_NS17warp_store_methodE0EdEvPT3_S4_i,comdat
.Lfunc_end47:
	.size	_Z25warp_store_guarded_kernelILj1024ELj4ELj1ELN7rocprim17ROCPRIM_304000_NS17warp_store_methodE0EdEvPT3_S4_i, .Lfunc_end47-_Z25warp_store_guarded_kernelILj1024ELj4ELj1ELN7rocprim17ROCPRIM_304000_NS17warp_store_methodE0EdEvPT3_S4_i
                                        ; -- End function
	.set _Z25warp_store_guarded_kernelILj1024ELj4ELj1ELN7rocprim17ROCPRIM_304000_NS17warp_store_methodE0EdEvPT3_S4_i.num_vgpr, 10
	.set _Z25warp_store_guarded_kernelILj1024ELj4ELj1ELN7rocprim17ROCPRIM_304000_NS17warp_store_methodE0EdEvPT3_S4_i.num_agpr, 0
	.set _Z25warp_store_guarded_kernelILj1024ELj4ELj1ELN7rocprim17ROCPRIM_304000_NS17warp_store_methodE0EdEvPT3_S4_i.numbered_sgpr, 7
	.set _Z25warp_store_guarded_kernelILj1024ELj4ELj1ELN7rocprim17ROCPRIM_304000_NS17warp_store_methodE0EdEvPT3_S4_i.num_named_barrier, 0
	.set _Z25warp_store_guarded_kernelILj1024ELj4ELj1ELN7rocprim17ROCPRIM_304000_NS17warp_store_methodE0EdEvPT3_S4_i.private_seg_size, 0
	.set _Z25warp_store_guarded_kernelILj1024ELj4ELj1ELN7rocprim17ROCPRIM_304000_NS17warp_store_methodE0EdEvPT3_S4_i.uses_vcc, 1
	.set _Z25warp_store_guarded_kernelILj1024ELj4ELj1ELN7rocprim17ROCPRIM_304000_NS17warp_store_methodE0EdEvPT3_S4_i.uses_flat_scratch, 0
	.set _Z25warp_store_guarded_kernelILj1024ELj4ELj1ELN7rocprim17ROCPRIM_304000_NS17warp_store_methodE0EdEvPT3_S4_i.has_dyn_sized_stack, 0
	.set _Z25warp_store_guarded_kernelILj1024ELj4ELj1ELN7rocprim17ROCPRIM_304000_NS17warp_store_methodE0EdEvPT3_S4_i.has_recursion, 0
	.set _Z25warp_store_guarded_kernelILj1024ELj4ELj1ELN7rocprim17ROCPRIM_304000_NS17warp_store_methodE0EdEvPT3_S4_i.has_indirect_call, 0
	.section	.AMDGPU.csdata,"",@progbits
; Kernel info:
; codeLenInByte = 176
; TotalNumSgprs: 11
; NumVgprs: 10
; ScratchSize: 0
; MemoryBound: 1
; FloatMode: 240
; IeeeMode: 1
; LDSByteSize: 0 bytes/workgroup (compile time only)
; SGPRBlocks: 1
; VGPRBlocks: 2
; NumSGPRsForWavesPerEU: 11
; NumVGPRsForWavesPerEU: 10
; Occupancy: 10
; WaveLimiterHint : 0
; COMPUTE_PGM_RSRC2:SCRATCH_EN: 0
; COMPUTE_PGM_RSRC2:USER_SGPR: 6
; COMPUTE_PGM_RSRC2:TRAP_HANDLER: 0
; COMPUTE_PGM_RSRC2:TGID_X_EN: 1
; COMPUTE_PGM_RSRC2:TGID_Y_EN: 0
; COMPUTE_PGM_RSRC2:TGID_Z_EN: 0
; COMPUTE_PGM_RSRC2:TIDIG_COMP_CNT: 0
	.section	.text._Z25warp_store_guarded_kernelILj1024ELj4ELj1ELN7rocprim17ROCPRIM_304000_NS17warp_store_methodE3EfEvPT3_S4_i,"axG",@progbits,_Z25warp_store_guarded_kernelILj1024ELj4ELj1ELN7rocprim17ROCPRIM_304000_NS17warp_store_methodE3EfEvPT3_S4_i,comdat
	.protected	_Z25warp_store_guarded_kernelILj1024ELj4ELj1ELN7rocprim17ROCPRIM_304000_NS17warp_store_methodE3EfEvPT3_S4_i ; -- Begin function _Z25warp_store_guarded_kernelILj1024ELj4ELj1ELN7rocprim17ROCPRIM_304000_NS17warp_store_methodE3EfEvPT3_S4_i
	.globl	_Z25warp_store_guarded_kernelILj1024ELj4ELj1ELN7rocprim17ROCPRIM_304000_NS17warp_store_methodE3EfEvPT3_S4_i
	.p2align	8
	.type	_Z25warp_store_guarded_kernelILj1024ELj4ELj1ELN7rocprim17ROCPRIM_304000_NS17warp_store_methodE3EfEvPT3_S4_i,@function
_Z25warp_store_guarded_kernelILj1024ELj4ELj1ELN7rocprim17ROCPRIM_304000_NS17warp_store_methodE3EfEvPT3_S4_i: ; @_Z25warp_store_guarded_kernelILj1024ELj4ELj1ELN7rocprim17ROCPRIM_304000_NS17warp_store_methodE3EfEvPT3_S4_i
; %bb.0:
	s_load_dwordx4 s[8:11], s[4:5], 0x0
	s_load_dword s0, s[4:5], 0x10
	v_lshlrev_b32_e32 v4, 4, v0
	s_waitcnt lgkmcnt(0)
	global_load_dwordx4 v[5:8], v4, s[8:9]
	v_mov_b32_e32 v1, s11
	v_add_co_u32_e32 v0, vcc, s10, v4
	s_cmp_eq_u32 s0, 0
	v_addc_co_u32_e32 v1, vcc, 0, v1, vcc
	s_waitcnt vmcnt(0)
	ds_write_b128 v4, v[5:8]
	; wave barrier
	s_cbranch_scc1 .LBB48_2
; %bb.1:
	ds_read_b32 v2, v4
	s_waitcnt lgkmcnt(0)
	global_store_dword v[0:1], v2, off
.LBB48_2:
	ds_read2_b32 v[2:3], v4 offset0:1 offset1:2
	s_cmp_lt_u32 s0, 2
	s_cbranch_scc0 .LBB48_6
; %bb.3:
	s_cmp_lt_u32 s0, 3
	s_cbranch_scc0 .LBB48_7
.LBB48_4:
	s_cmp_lt_u32 s0, 4
	s_cbranch_scc0 .LBB48_8
.LBB48_5:
	s_endpgm
.LBB48_6:
	s_waitcnt lgkmcnt(0)
	global_store_dword v[0:1], v2, off offset:4
	s_cmp_lt_u32 s0, 3
	s_cbranch_scc1 .LBB48_4
.LBB48_7:
	s_waitcnt lgkmcnt(0)
	global_store_dword v[0:1], v3, off offset:8
	s_cmp_lt_u32 s0, 4
	s_cbranch_scc1 .LBB48_5
.LBB48_8:
	s_waitcnt lgkmcnt(0)
	ds_read_b32 v2, v4 offset:12
	s_waitcnt lgkmcnt(0)
	global_store_dword v[0:1], v2, off offset:12
	s_endpgm
	.section	.rodata,"a",@progbits
	.p2align	6, 0x0
	.amdhsa_kernel _Z25warp_store_guarded_kernelILj1024ELj4ELj1ELN7rocprim17ROCPRIM_304000_NS17warp_store_methodE3EfEvPT3_S4_i
		.amdhsa_group_segment_fixed_size 16384
		.amdhsa_private_segment_fixed_size 0
		.amdhsa_kernarg_size 20
		.amdhsa_user_sgpr_count 6
		.amdhsa_user_sgpr_private_segment_buffer 1
		.amdhsa_user_sgpr_dispatch_ptr 0
		.amdhsa_user_sgpr_queue_ptr 0
		.amdhsa_user_sgpr_kernarg_segment_ptr 1
		.amdhsa_user_sgpr_dispatch_id 0
		.amdhsa_user_sgpr_flat_scratch_init 0
		.amdhsa_user_sgpr_private_segment_size 0
		.amdhsa_uses_dynamic_stack 0
		.amdhsa_system_sgpr_private_segment_wavefront_offset 0
		.amdhsa_system_sgpr_workgroup_id_x 1
		.amdhsa_system_sgpr_workgroup_id_y 0
		.amdhsa_system_sgpr_workgroup_id_z 0
		.amdhsa_system_sgpr_workgroup_info 0
		.amdhsa_system_vgpr_workitem_id 0
		.amdhsa_next_free_vgpr 29
		.amdhsa_next_free_sgpr 61
		.amdhsa_reserve_vcc 1
		.amdhsa_reserve_flat_scratch 0
		.amdhsa_float_round_mode_32 0
		.amdhsa_float_round_mode_16_64 0
		.amdhsa_float_denorm_mode_32 3
		.amdhsa_float_denorm_mode_16_64 3
		.amdhsa_dx10_clamp 1
		.amdhsa_ieee_mode 1
		.amdhsa_fp16_overflow 0
		.amdhsa_exception_fp_ieee_invalid_op 0
		.amdhsa_exception_fp_denorm_src 0
		.amdhsa_exception_fp_ieee_div_zero 0
		.amdhsa_exception_fp_ieee_overflow 0
		.amdhsa_exception_fp_ieee_underflow 0
		.amdhsa_exception_fp_ieee_inexact 0
		.amdhsa_exception_int_div_zero 0
	.end_amdhsa_kernel
	.section	.text._Z25warp_store_guarded_kernelILj1024ELj4ELj1ELN7rocprim17ROCPRIM_304000_NS17warp_store_methodE3EfEvPT3_S4_i,"axG",@progbits,_Z25warp_store_guarded_kernelILj1024ELj4ELj1ELN7rocprim17ROCPRIM_304000_NS17warp_store_methodE3EfEvPT3_S4_i,comdat
.Lfunc_end48:
	.size	_Z25warp_store_guarded_kernelILj1024ELj4ELj1ELN7rocprim17ROCPRIM_304000_NS17warp_store_methodE3EfEvPT3_S4_i, .Lfunc_end48-_Z25warp_store_guarded_kernelILj1024ELj4ELj1ELN7rocprim17ROCPRIM_304000_NS17warp_store_methodE3EfEvPT3_S4_i
                                        ; -- End function
	.set _Z25warp_store_guarded_kernelILj1024ELj4ELj1ELN7rocprim17ROCPRIM_304000_NS17warp_store_methodE3EfEvPT3_S4_i.num_vgpr, 9
	.set _Z25warp_store_guarded_kernelILj1024ELj4ELj1ELN7rocprim17ROCPRIM_304000_NS17warp_store_methodE3EfEvPT3_S4_i.num_agpr, 0
	.set _Z25warp_store_guarded_kernelILj1024ELj4ELj1ELN7rocprim17ROCPRIM_304000_NS17warp_store_methodE3EfEvPT3_S4_i.numbered_sgpr, 12
	.set _Z25warp_store_guarded_kernelILj1024ELj4ELj1ELN7rocprim17ROCPRIM_304000_NS17warp_store_methodE3EfEvPT3_S4_i.num_named_barrier, 0
	.set _Z25warp_store_guarded_kernelILj1024ELj4ELj1ELN7rocprim17ROCPRIM_304000_NS17warp_store_methodE3EfEvPT3_S4_i.private_seg_size, 0
	.set _Z25warp_store_guarded_kernelILj1024ELj4ELj1ELN7rocprim17ROCPRIM_304000_NS17warp_store_methodE3EfEvPT3_S4_i.uses_vcc, 1
	.set _Z25warp_store_guarded_kernelILj1024ELj4ELj1ELN7rocprim17ROCPRIM_304000_NS17warp_store_methodE3EfEvPT3_S4_i.uses_flat_scratch, 0
	.set _Z25warp_store_guarded_kernelILj1024ELj4ELj1ELN7rocprim17ROCPRIM_304000_NS17warp_store_methodE3EfEvPT3_S4_i.has_dyn_sized_stack, 0
	.set _Z25warp_store_guarded_kernelILj1024ELj4ELj1ELN7rocprim17ROCPRIM_304000_NS17warp_store_methodE3EfEvPT3_S4_i.has_recursion, 0
	.set _Z25warp_store_guarded_kernelILj1024ELj4ELj1ELN7rocprim17ROCPRIM_304000_NS17warp_store_methodE3EfEvPT3_S4_i.has_indirect_call, 0
	.section	.AMDGPU.csdata,"",@progbits
; Kernel info:
; codeLenInByte = 188
; TotalNumSgprs: 16
; NumVgprs: 9
; ScratchSize: 0
; MemoryBound: 0
; FloatMode: 240
; IeeeMode: 1
; LDSByteSize: 16384 bytes/workgroup (compile time only)
; SGPRBlocks: 8
; VGPRBlocks: 7
; NumSGPRsForWavesPerEU: 65
; NumVGPRsForWavesPerEU: 29
; Occupancy: 8
; WaveLimiterHint : 0
; COMPUTE_PGM_RSRC2:SCRATCH_EN: 0
; COMPUTE_PGM_RSRC2:USER_SGPR: 6
; COMPUTE_PGM_RSRC2:TRAP_HANDLER: 0
; COMPUTE_PGM_RSRC2:TGID_X_EN: 1
; COMPUTE_PGM_RSRC2:TGID_Y_EN: 0
; COMPUTE_PGM_RSRC2:TGID_Z_EN: 0
; COMPUTE_PGM_RSRC2:TIDIG_COMP_CNT: 0
	.section	.text._Z25warp_store_guarded_kernelILj1024ELj4ELj1ELN7rocprim17ROCPRIM_304000_NS17warp_store_methodE2EfEvPT3_S4_i,"axG",@progbits,_Z25warp_store_guarded_kernelILj1024ELj4ELj1ELN7rocprim17ROCPRIM_304000_NS17warp_store_methodE2EfEvPT3_S4_i,comdat
	.protected	_Z25warp_store_guarded_kernelILj1024ELj4ELj1ELN7rocprim17ROCPRIM_304000_NS17warp_store_methodE2EfEvPT3_S4_i ; -- Begin function _Z25warp_store_guarded_kernelILj1024ELj4ELj1ELN7rocprim17ROCPRIM_304000_NS17warp_store_methodE2EfEvPT3_S4_i
	.globl	_Z25warp_store_guarded_kernelILj1024ELj4ELj1ELN7rocprim17ROCPRIM_304000_NS17warp_store_methodE2EfEvPT3_S4_i
	.p2align	8
	.type	_Z25warp_store_guarded_kernelILj1024ELj4ELj1ELN7rocprim17ROCPRIM_304000_NS17warp_store_methodE2EfEvPT3_S4_i,@function
_Z25warp_store_guarded_kernelILj1024ELj4ELj1ELN7rocprim17ROCPRIM_304000_NS17warp_store_methodE2EfEvPT3_S4_i: ; @_Z25warp_store_guarded_kernelILj1024ELj4ELj1ELN7rocprim17ROCPRIM_304000_NS17warp_store_methodE2EfEvPT3_S4_i
; %bb.0:
	s_load_dwordx4 s[0:3], s[4:5], 0x0
	s_load_dword s6, s[4:5], 0x10
	v_lshlrev_b32_e32 v5, 4, v0
	s_waitcnt lgkmcnt(0)
	global_load_dwordx3 v[0:2], v5, s[0:1] offset:4
	v_mov_b32_e32 v4, s3
	v_add_co_u32_e32 v3, vcc, s2, v5
	s_cmp_eq_u32 s6, 0
	v_addc_co_u32_e32 v4, vcc, 0, v4, vcc
	s_cbranch_scc1 .LBB49_2
; %bb.1:
	v_mov_b32_e32 v6, s1
	v_add_co_u32_e32 v5, vcc, s0, v5
	v_addc_co_u32_e32 v6, vcc, 0, v6, vcc
	global_load_dword v5, v[5:6], off
	s_waitcnt vmcnt(0)
	global_store_dword v[3:4], v5, off
.LBB49_2:
	s_cmp_lt_u32 s6, 2
	s_cbranch_scc0 .LBB49_6
; %bb.3:
	s_cmp_lt_u32 s6, 3
	s_cbranch_scc0 .LBB49_7
.LBB49_4:
	s_cmp_lt_u32 s6, 4
	s_cbranch_scc0 .LBB49_8
.LBB49_5:
	s_endpgm
.LBB49_6:
	s_waitcnt vmcnt(0)
	global_store_dword v[3:4], v0, off offset:4
	s_cmp_lt_u32 s6, 3
	s_cbranch_scc1 .LBB49_4
.LBB49_7:
	s_waitcnt vmcnt(0)
	global_store_dword v[3:4], v1, off offset:8
	s_cmp_lt_u32 s6, 4
	s_cbranch_scc1 .LBB49_5
.LBB49_8:
	s_waitcnt vmcnt(0)
	global_store_dword v[3:4], v2, off offset:12
	s_endpgm
	.section	.rodata,"a",@progbits
	.p2align	6, 0x0
	.amdhsa_kernel _Z25warp_store_guarded_kernelILj1024ELj4ELj1ELN7rocprim17ROCPRIM_304000_NS17warp_store_methodE2EfEvPT3_S4_i
		.amdhsa_group_segment_fixed_size 0
		.amdhsa_private_segment_fixed_size 0
		.amdhsa_kernarg_size 20
		.amdhsa_user_sgpr_count 6
		.amdhsa_user_sgpr_private_segment_buffer 1
		.amdhsa_user_sgpr_dispatch_ptr 0
		.amdhsa_user_sgpr_queue_ptr 0
		.amdhsa_user_sgpr_kernarg_segment_ptr 1
		.amdhsa_user_sgpr_dispatch_id 0
		.amdhsa_user_sgpr_flat_scratch_init 0
		.amdhsa_user_sgpr_private_segment_size 0
		.amdhsa_uses_dynamic_stack 0
		.amdhsa_system_sgpr_private_segment_wavefront_offset 0
		.amdhsa_system_sgpr_workgroup_id_x 1
		.amdhsa_system_sgpr_workgroup_id_y 0
		.amdhsa_system_sgpr_workgroup_id_z 0
		.amdhsa_system_sgpr_workgroup_info 0
		.amdhsa_system_vgpr_workitem_id 0
		.amdhsa_next_free_vgpr 7
		.amdhsa_next_free_sgpr 7
		.amdhsa_reserve_vcc 1
		.amdhsa_reserve_flat_scratch 0
		.amdhsa_float_round_mode_32 0
		.amdhsa_float_round_mode_16_64 0
		.amdhsa_float_denorm_mode_32 3
		.amdhsa_float_denorm_mode_16_64 3
		.amdhsa_dx10_clamp 1
		.amdhsa_ieee_mode 1
		.amdhsa_fp16_overflow 0
		.amdhsa_exception_fp_ieee_invalid_op 0
		.amdhsa_exception_fp_denorm_src 0
		.amdhsa_exception_fp_ieee_div_zero 0
		.amdhsa_exception_fp_ieee_overflow 0
		.amdhsa_exception_fp_ieee_underflow 0
		.amdhsa_exception_fp_ieee_inexact 0
		.amdhsa_exception_int_div_zero 0
	.end_amdhsa_kernel
	.section	.text._Z25warp_store_guarded_kernelILj1024ELj4ELj1ELN7rocprim17ROCPRIM_304000_NS17warp_store_methodE2EfEvPT3_S4_i,"axG",@progbits,_Z25warp_store_guarded_kernelILj1024ELj4ELj1ELN7rocprim17ROCPRIM_304000_NS17warp_store_methodE2EfEvPT3_S4_i,comdat
.Lfunc_end49:
	.size	_Z25warp_store_guarded_kernelILj1024ELj4ELj1ELN7rocprim17ROCPRIM_304000_NS17warp_store_methodE2EfEvPT3_S4_i, .Lfunc_end49-_Z25warp_store_guarded_kernelILj1024ELj4ELj1ELN7rocprim17ROCPRIM_304000_NS17warp_store_methodE2EfEvPT3_S4_i
                                        ; -- End function
	.set _Z25warp_store_guarded_kernelILj1024ELj4ELj1ELN7rocprim17ROCPRIM_304000_NS17warp_store_methodE2EfEvPT3_S4_i.num_vgpr, 7
	.set _Z25warp_store_guarded_kernelILj1024ELj4ELj1ELN7rocprim17ROCPRIM_304000_NS17warp_store_methodE2EfEvPT3_S4_i.num_agpr, 0
	.set _Z25warp_store_guarded_kernelILj1024ELj4ELj1ELN7rocprim17ROCPRIM_304000_NS17warp_store_methodE2EfEvPT3_S4_i.numbered_sgpr, 7
	.set _Z25warp_store_guarded_kernelILj1024ELj4ELj1ELN7rocprim17ROCPRIM_304000_NS17warp_store_methodE2EfEvPT3_S4_i.num_named_barrier, 0
	.set _Z25warp_store_guarded_kernelILj1024ELj4ELj1ELN7rocprim17ROCPRIM_304000_NS17warp_store_methodE2EfEvPT3_S4_i.private_seg_size, 0
	.set _Z25warp_store_guarded_kernelILj1024ELj4ELj1ELN7rocprim17ROCPRIM_304000_NS17warp_store_methodE2EfEvPT3_S4_i.uses_vcc, 1
	.set _Z25warp_store_guarded_kernelILj1024ELj4ELj1ELN7rocprim17ROCPRIM_304000_NS17warp_store_methodE2EfEvPT3_S4_i.uses_flat_scratch, 0
	.set _Z25warp_store_guarded_kernelILj1024ELj4ELj1ELN7rocprim17ROCPRIM_304000_NS17warp_store_methodE2EfEvPT3_S4_i.has_dyn_sized_stack, 0
	.set _Z25warp_store_guarded_kernelILj1024ELj4ELj1ELN7rocprim17ROCPRIM_304000_NS17warp_store_methodE2EfEvPT3_S4_i.has_recursion, 0
	.set _Z25warp_store_guarded_kernelILj1024ELj4ELj1ELN7rocprim17ROCPRIM_304000_NS17warp_store_methodE2EfEvPT3_S4_i.has_indirect_call, 0
	.section	.AMDGPU.csdata,"",@progbits
; Kernel info:
; codeLenInByte = 168
; TotalNumSgprs: 11
; NumVgprs: 7
; ScratchSize: 0
; MemoryBound: 0
; FloatMode: 240
; IeeeMode: 1
; LDSByteSize: 0 bytes/workgroup (compile time only)
; SGPRBlocks: 1
; VGPRBlocks: 1
; NumSGPRsForWavesPerEU: 11
; NumVGPRsForWavesPerEU: 7
; Occupancy: 10
; WaveLimiterHint : 0
; COMPUTE_PGM_RSRC2:SCRATCH_EN: 0
; COMPUTE_PGM_RSRC2:USER_SGPR: 6
; COMPUTE_PGM_RSRC2:TRAP_HANDLER: 0
; COMPUTE_PGM_RSRC2:TGID_X_EN: 1
; COMPUTE_PGM_RSRC2:TGID_Y_EN: 0
; COMPUTE_PGM_RSRC2:TGID_Z_EN: 0
; COMPUTE_PGM_RSRC2:TIDIG_COMP_CNT: 0
	.section	.text._Z25warp_store_guarded_kernelILj1024ELj4ELj1ELN7rocprim17ROCPRIM_304000_NS17warp_store_methodE1EfEvPT3_S4_i,"axG",@progbits,_Z25warp_store_guarded_kernelILj1024ELj4ELj1ELN7rocprim17ROCPRIM_304000_NS17warp_store_methodE1EfEvPT3_S4_i,comdat
	.protected	_Z25warp_store_guarded_kernelILj1024ELj4ELj1ELN7rocprim17ROCPRIM_304000_NS17warp_store_methodE1EfEvPT3_S4_i ; -- Begin function _Z25warp_store_guarded_kernelILj1024ELj4ELj1ELN7rocprim17ROCPRIM_304000_NS17warp_store_methodE1EfEvPT3_S4_i
	.globl	_Z25warp_store_guarded_kernelILj1024ELj4ELj1ELN7rocprim17ROCPRIM_304000_NS17warp_store_methodE1EfEvPT3_S4_i
	.p2align	8
	.type	_Z25warp_store_guarded_kernelILj1024ELj4ELj1ELN7rocprim17ROCPRIM_304000_NS17warp_store_methodE1EfEvPT3_S4_i,@function
_Z25warp_store_guarded_kernelILj1024ELj4ELj1ELN7rocprim17ROCPRIM_304000_NS17warp_store_methodE1EfEvPT3_S4_i: ; @_Z25warp_store_guarded_kernelILj1024ELj4ELj1ELN7rocprim17ROCPRIM_304000_NS17warp_store_methodE1EfEvPT3_S4_i
; %bb.0:
	s_load_dwordx4 s[0:3], s[4:5], 0x0
	s_load_dword s6, s[4:5], 0x10
	v_lshlrev_b32_e32 v5, 4, v0
	s_waitcnt lgkmcnt(0)
	global_load_dwordx3 v[0:2], v5, s[0:1] offset:4
	v_mov_b32_e32 v4, s3
	v_add_co_u32_e32 v3, vcc, s2, v5
	s_cmp_eq_u32 s6, 0
	v_addc_co_u32_e32 v4, vcc, 0, v4, vcc
	s_cbranch_scc1 .LBB50_2
; %bb.1:
	v_mov_b32_e32 v6, s1
	v_add_co_u32_e32 v5, vcc, s0, v5
	v_addc_co_u32_e32 v6, vcc, 0, v6, vcc
	global_load_dword v5, v[5:6], off
	s_waitcnt vmcnt(0)
	global_store_dword v[3:4], v5, off
.LBB50_2:
	s_cmp_lt_u32 s6, 2
	s_cbranch_scc0 .LBB50_6
; %bb.3:
	s_cmp_lt_u32 s6, 3
	s_cbranch_scc0 .LBB50_7
.LBB50_4:
	s_cmp_lt_u32 s6, 4
	s_cbranch_scc0 .LBB50_8
.LBB50_5:
	s_endpgm
.LBB50_6:
	s_waitcnt vmcnt(0)
	global_store_dword v[3:4], v0, off offset:4
	s_cmp_lt_u32 s6, 3
	s_cbranch_scc1 .LBB50_4
.LBB50_7:
	s_waitcnt vmcnt(0)
	global_store_dword v[3:4], v1, off offset:8
	s_cmp_lt_u32 s6, 4
	s_cbranch_scc1 .LBB50_5
.LBB50_8:
	s_waitcnt vmcnt(0)
	global_store_dword v[3:4], v2, off offset:12
	s_endpgm
	.section	.rodata,"a",@progbits
	.p2align	6, 0x0
	.amdhsa_kernel _Z25warp_store_guarded_kernelILj1024ELj4ELj1ELN7rocprim17ROCPRIM_304000_NS17warp_store_methodE1EfEvPT3_S4_i
		.amdhsa_group_segment_fixed_size 0
		.amdhsa_private_segment_fixed_size 0
		.amdhsa_kernarg_size 20
		.amdhsa_user_sgpr_count 6
		.amdhsa_user_sgpr_private_segment_buffer 1
		.amdhsa_user_sgpr_dispatch_ptr 0
		.amdhsa_user_sgpr_queue_ptr 0
		.amdhsa_user_sgpr_kernarg_segment_ptr 1
		.amdhsa_user_sgpr_dispatch_id 0
		.amdhsa_user_sgpr_flat_scratch_init 0
		.amdhsa_user_sgpr_private_segment_size 0
		.amdhsa_uses_dynamic_stack 0
		.amdhsa_system_sgpr_private_segment_wavefront_offset 0
		.amdhsa_system_sgpr_workgroup_id_x 1
		.amdhsa_system_sgpr_workgroup_id_y 0
		.amdhsa_system_sgpr_workgroup_id_z 0
		.amdhsa_system_sgpr_workgroup_info 0
		.amdhsa_system_vgpr_workitem_id 0
		.amdhsa_next_free_vgpr 7
		.amdhsa_next_free_sgpr 7
		.amdhsa_reserve_vcc 1
		.amdhsa_reserve_flat_scratch 0
		.amdhsa_float_round_mode_32 0
		.amdhsa_float_round_mode_16_64 0
		.amdhsa_float_denorm_mode_32 3
		.amdhsa_float_denorm_mode_16_64 3
		.amdhsa_dx10_clamp 1
		.amdhsa_ieee_mode 1
		.amdhsa_fp16_overflow 0
		.amdhsa_exception_fp_ieee_invalid_op 0
		.amdhsa_exception_fp_denorm_src 0
		.amdhsa_exception_fp_ieee_div_zero 0
		.amdhsa_exception_fp_ieee_overflow 0
		.amdhsa_exception_fp_ieee_underflow 0
		.amdhsa_exception_fp_ieee_inexact 0
		.amdhsa_exception_int_div_zero 0
	.end_amdhsa_kernel
	.section	.text._Z25warp_store_guarded_kernelILj1024ELj4ELj1ELN7rocprim17ROCPRIM_304000_NS17warp_store_methodE1EfEvPT3_S4_i,"axG",@progbits,_Z25warp_store_guarded_kernelILj1024ELj4ELj1ELN7rocprim17ROCPRIM_304000_NS17warp_store_methodE1EfEvPT3_S4_i,comdat
.Lfunc_end50:
	.size	_Z25warp_store_guarded_kernelILj1024ELj4ELj1ELN7rocprim17ROCPRIM_304000_NS17warp_store_methodE1EfEvPT3_S4_i, .Lfunc_end50-_Z25warp_store_guarded_kernelILj1024ELj4ELj1ELN7rocprim17ROCPRIM_304000_NS17warp_store_methodE1EfEvPT3_S4_i
                                        ; -- End function
	.set _Z25warp_store_guarded_kernelILj1024ELj4ELj1ELN7rocprim17ROCPRIM_304000_NS17warp_store_methodE1EfEvPT3_S4_i.num_vgpr, 7
	.set _Z25warp_store_guarded_kernelILj1024ELj4ELj1ELN7rocprim17ROCPRIM_304000_NS17warp_store_methodE1EfEvPT3_S4_i.num_agpr, 0
	.set _Z25warp_store_guarded_kernelILj1024ELj4ELj1ELN7rocprim17ROCPRIM_304000_NS17warp_store_methodE1EfEvPT3_S4_i.numbered_sgpr, 7
	.set _Z25warp_store_guarded_kernelILj1024ELj4ELj1ELN7rocprim17ROCPRIM_304000_NS17warp_store_methodE1EfEvPT3_S4_i.num_named_barrier, 0
	.set _Z25warp_store_guarded_kernelILj1024ELj4ELj1ELN7rocprim17ROCPRIM_304000_NS17warp_store_methodE1EfEvPT3_S4_i.private_seg_size, 0
	.set _Z25warp_store_guarded_kernelILj1024ELj4ELj1ELN7rocprim17ROCPRIM_304000_NS17warp_store_methodE1EfEvPT3_S4_i.uses_vcc, 1
	.set _Z25warp_store_guarded_kernelILj1024ELj4ELj1ELN7rocprim17ROCPRIM_304000_NS17warp_store_methodE1EfEvPT3_S4_i.uses_flat_scratch, 0
	.set _Z25warp_store_guarded_kernelILj1024ELj4ELj1ELN7rocprim17ROCPRIM_304000_NS17warp_store_methodE1EfEvPT3_S4_i.has_dyn_sized_stack, 0
	.set _Z25warp_store_guarded_kernelILj1024ELj4ELj1ELN7rocprim17ROCPRIM_304000_NS17warp_store_methodE1EfEvPT3_S4_i.has_recursion, 0
	.set _Z25warp_store_guarded_kernelILj1024ELj4ELj1ELN7rocprim17ROCPRIM_304000_NS17warp_store_methodE1EfEvPT3_S4_i.has_indirect_call, 0
	.section	.AMDGPU.csdata,"",@progbits
; Kernel info:
; codeLenInByte = 168
; TotalNumSgprs: 11
; NumVgprs: 7
; ScratchSize: 0
; MemoryBound: 0
; FloatMode: 240
; IeeeMode: 1
; LDSByteSize: 0 bytes/workgroup (compile time only)
; SGPRBlocks: 1
; VGPRBlocks: 1
; NumSGPRsForWavesPerEU: 11
; NumVGPRsForWavesPerEU: 7
; Occupancy: 10
; WaveLimiterHint : 0
; COMPUTE_PGM_RSRC2:SCRATCH_EN: 0
; COMPUTE_PGM_RSRC2:USER_SGPR: 6
; COMPUTE_PGM_RSRC2:TRAP_HANDLER: 0
; COMPUTE_PGM_RSRC2:TGID_X_EN: 1
; COMPUTE_PGM_RSRC2:TGID_Y_EN: 0
; COMPUTE_PGM_RSRC2:TGID_Z_EN: 0
; COMPUTE_PGM_RSRC2:TIDIG_COMP_CNT: 0
	.section	.text._Z25warp_store_guarded_kernelILj1024ELj4ELj1ELN7rocprim17ROCPRIM_304000_NS17warp_store_methodE0EfEvPT3_S4_i,"axG",@progbits,_Z25warp_store_guarded_kernelILj1024ELj4ELj1ELN7rocprim17ROCPRIM_304000_NS17warp_store_methodE0EfEvPT3_S4_i,comdat
	.protected	_Z25warp_store_guarded_kernelILj1024ELj4ELj1ELN7rocprim17ROCPRIM_304000_NS17warp_store_methodE0EfEvPT3_S4_i ; -- Begin function _Z25warp_store_guarded_kernelILj1024ELj4ELj1ELN7rocprim17ROCPRIM_304000_NS17warp_store_methodE0EfEvPT3_S4_i
	.globl	_Z25warp_store_guarded_kernelILj1024ELj4ELj1ELN7rocprim17ROCPRIM_304000_NS17warp_store_methodE0EfEvPT3_S4_i
	.p2align	8
	.type	_Z25warp_store_guarded_kernelILj1024ELj4ELj1ELN7rocprim17ROCPRIM_304000_NS17warp_store_methodE0EfEvPT3_S4_i,@function
_Z25warp_store_guarded_kernelILj1024ELj4ELj1ELN7rocprim17ROCPRIM_304000_NS17warp_store_methodE0EfEvPT3_S4_i: ; @_Z25warp_store_guarded_kernelILj1024ELj4ELj1ELN7rocprim17ROCPRIM_304000_NS17warp_store_methodE0EfEvPT3_S4_i
; %bb.0:
	s_load_dwordx4 s[0:3], s[4:5], 0x0
	s_load_dword s6, s[4:5], 0x10
	v_lshlrev_b32_e32 v5, 4, v0
	s_waitcnt lgkmcnt(0)
	global_load_dwordx3 v[0:2], v5, s[0:1] offset:4
	v_mov_b32_e32 v4, s3
	v_add_co_u32_e32 v3, vcc, s2, v5
	s_cmp_eq_u32 s6, 0
	v_addc_co_u32_e32 v4, vcc, 0, v4, vcc
	s_cbranch_scc1 .LBB51_2
; %bb.1:
	v_mov_b32_e32 v6, s1
	v_add_co_u32_e32 v5, vcc, s0, v5
	v_addc_co_u32_e32 v6, vcc, 0, v6, vcc
	global_load_dword v5, v[5:6], off
	s_waitcnt vmcnt(0)
	global_store_dword v[3:4], v5, off
.LBB51_2:
	s_cmp_lt_u32 s6, 2
	s_cbranch_scc0 .LBB51_6
; %bb.3:
	s_cmp_lt_u32 s6, 3
	s_cbranch_scc0 .LBB51_7
.LBB51_4:
	s_cmp_lt_u32 s6, 4
	s_cbranch_scc0 .LBB51_8
.LBB51_5:
	s_endpgm
.LBB51_6:
	s_waitcnt vmcnt(0)
	global_store_dword v[3:4], v0, off offset:4
	s_cmp_lt_u32 s6, 3
	s_cbranch_scc1 .LBB51_4
.LBB51_7:
	s_waitcnt vmcnt(0)
	global_store_dword v[3:4], v1, off offset:8
	s_cmp_lt_u32 s6, 4
	s_cbranch_scc1 .LBB51_5
.LBB51_8:
	s_waitcnt vmcnt(0)
	global_store_dword v[3:4], v2, off offset:12
	s_endpgm
	.section	.rodata,"a",@progbits
	.p2align	6, 0x0
	.amdhsa_kernel _Z25warp_store_guarded_kernelILj1024ELj4ELj1ELN7rocprim17ROCPRIM_304000_NS17warp_store_methodE0EfEvPT3_S4_i
		.amdhsa_group_segment_fixed_size 0
		.amdhsa_private_segment_fixed_size 0
		.amdhsa_kernarg_size 20
		.amdhsa_user_sgpr_count 6
		.amdhsa_user_sgpr_private_segment_buffer 1
		.amdhsa_user_sgpr_dispatch_ptr 0
		.amdhsa_user_sgpr_queue_ptr 0
		.amdhsa_user_sgpr_kernarg_segment_ptr 1
		.amdhsa_user_sgpr_dispatch_id 0
		.amdhsa_user_sgpr_flat_scratch_init 0
		.amdhsa_user_sgpr_private_segment_size 0
		.amdhsa_uses_dynamic_stack 0
		.amdhsa_system_sgpr_private_segment_wavefront_offset 0
		.amdhsa_system_sgpr_workgroup_id_x 1
		.amdhsa_system_sgpr_workgroup_id_y 0
		.amdhsa_system_sgpr_workgroup_id_z 0
		.amdhsa_system_sgpr_workgroup_info 0
		.amdhsa_system_vgpr_workitem_id 0
		.amdhsa_next_free_vgpr 7
		.amdhsa_next_free_sgpr 7
		.amdhsa_reserve_vcc 1
		.amdhsa_reserve_flat_scratch 0
		.amdhsa_float_round_mode_32 0
		.amdhsa_float_round_mode_16_64 0
		.amdhsa_float_denorm_mode_32 3
		.amdhsa_float_denorm_mode_16_64 3
		.amdhsa_dx10_clamp 1
		.amdhsa_ieee_mode 1
		.amdhsa_fp16_overflow 0
		.amdhsa_exception_fp_ieee_invalid_op 0
		.amdhsa_exception_fp_denorm_src 0
		.amdhsa_exception_fp_ieee_div_zero 0
		.amdhsa_exception_fp_ieee_overflow 0
		.amdhsa_exception_fp_ieee_underflow 0
		.amdhsa_exception_fp_ieee_inexact 0
		.amdhsa_exception_int_div_zero 0
	.end_amdhsa_kernel
	.section	.text._Z25warp_store_guarded_kernelILj1024ELj4ELj1ELN7rocprim17ROCPRIM_304000_NS17warp_store_methodE0EfEvPT3_S4_i,"axG",@progbits,_Z25warp_store_guarded_kernelILj1024ELj4ELj1ELN7rocprim17ROCPRIM_304000_NS17warp_store_methodE0EfEvPT3_S4_i,comdat
.Lfunc_end51:
	.size	_Z25warp_store_guarded_kernelILj1024ELj4ELj1ELN7rocprim17ROCPRIM_304000_NS17warp_store_methodE0EfEvPT3_S4_i, .Lfunc_end51-_Z25warp_store_guarded_kernelILj1024ELj4ELj1ELN7rocprim17ROCPRIM_304000_NS17warp_store_methodE0EfEvPT3_S4_i
                                        ; -- End function
	.set _Z25warp_store_guarded_kernelILj1024ELj4ELj1ELN7rocprim17ROCPRIM_304000_NS17warp_store_methodE0EfEvPT3_S4_i.num_vgpr, 7
	.set _Z25warp_store_guarded_kernelILj1024ELj4ELj1ELN7rocprim17ROCPRIM_304000_NS17warp_store_methodE0EfEvPT3_S4_i.num_agpr, 0
	.set _Z25warp_store_guarded_kernelILj1024ELj4ELj1ELN7rocprim17ROCPRIM_304000_NS17warp_store_methodE0EfEvPT3_S4_i.numbered_sgpr, 7
	.set _Z25warp_store_guarded_kernelILj1024ELj4ELj1ELN7rocprim17ROCPRIM_304000_NS17warp_store_methodE0EfEvPT3_S4_i.num_named_barrier, 0
	.set _Z25warp_store_guarded_kernelILj1024ELj4ELj1ELN7rocprim17ROCPRIM_304000_NS17warp_store_methodE0EfEvPT3_S4_i.private_seg_size, 0
	.set _Z25warp_store_guarded_kernelILj1024ELj4ELj1ELN7rocprim17ROCPRIM_304000_NS17warp_store_methodE0EfEvPT3_S4_i.uses_vcc, 1
	.set _Z25warp_store_guarded_kernelILj1024ELj4ELj1ELN7rocprim17ROCPRIM_304000_NS17warp_store_methodE0EfEvPT3_S4_i.uses_flat_scratch, 0
	.set _Z25warp_store_guarded_kernelILj1024ELj4ELj1ELN7rocprim17ROCPRIM_304000_NS17warp_store_methodE0EfEvPT3_S4_i.has_dyn_sized_stack, 0
	.set _Z25warp_store_guarded_kernelILj1024ELj4ELj1ELN7rocprim17ROCPRIM_304000_NS17warp_store_methodE0EfEvPT3_S4_i.has_recursion, 0
	.set _Z25warp_store_guarded_kernelILj1024ELj4ELj1ELN7rocprim17ROCPRIM_304000_NS17warp_store_methodE0EfEvPT3_S4_i.has_indirect_call, 0
	.section	.AMDGPU.csdata,"",@progbits
; Kernel info:
; codeLenInByte = 168
; TotalNumSgprs: 11
; NumVgprs: 7
; ScratchSize: 0
; MemoryBound: 0
; FloatMode: 240
; IeeeMode: 1
; LDSByteSize: 0 bytes/workgroup (compile time only)
; SGPRBlocks: 1
; VGPRBlocks: 1
; NumSGPRsForWavesPerEU: 11
; NumVGPRsForWavesPerEU: 7
; Occupancy: 10
; WaveLimiterHint : 0
; COMPUTE_PGM_RSRC2:SCRATCH_EN: 0
; COMPUTE_PGM_RSRC2:USER_SGPR: 6
; COMPUTE_PGM_RSRC2:TRAP_HANDLER: 0
; COMPUTE_PGM_RSRC2:TGID_X_EN: 1
; COMPUTE_PGM_RSRC2:TGID_Y_EN: 0
; COMPUTE_PGM_RSRC2:TGID_Z_EN: 0
; COMPUTE_PGM_RSRC2:TIDIG_COMP_CNT: 0
	.section	.text._Z25warp_store_guarded_kernelILj1024ELj4ELj1ELN7rocprim17ROCPRIM_304000_NS17warp_store_methodE3EhEvPT3_S4_i,"axG",@progbits,_Z25warp_store_guarded_kernelILj1024ELj4ELj1ELN7rocprim17ROCPRIM_304000_NS17warp_store_methodE3EhEvPT3_S4_i,comdat
	.protected	_Z25warp_store_guarded_kernelILj1024ELj4ELj1ELN7rocprim17ROCPRIM_304000_NS17warp_store_methodE3EhEvPT3_S4_i ; -- Begin function _Z25warp_store_guarded_kernelILj1024ELj4ELj1ELN7rocprim17ROCPRIM_304000_NS17warp_store_methodE3EhEvPT3_S4_i
	.globl	_Z25warp_store_guarded_kernelILj1024ELj4ELj1ELN7rocprim17ROCPRIM_304000_NS17warp_store_methodE3EhEvPT3_S4_i
	.p2align	8
	.type	_Z25warp_store_guarded_kernelILj1024ELj4ELj1ELN7rocprim17ROCPRIM_304000_NS17warp_store_methodE3EhEvPT3_S4_i,@function
_Z25warp_store_guarded_kernelILj1024ELj4ELj1ELN7rocprim17ROCPRIM_304000_NS17warp_store_methodE3EhEvPT3_S4_i: ; @_Z25warp_store_guarded_kernelILj1024ELj4ELj1ELN7rocprim17ROCPRIM_304000_NS17warp_store_methodE3EhEvPT3_S4_i
; %bb.0:
	s_load_dwordx4 s[8:11], s[4:5], 0x0
	s_load_dword s0, s[4:5], 0x10
	v_lshlrev_b32_e32 v2, 2, v0
	s_waitcnt lgkmcnt(0)
	global_load_dword v3, v2, s[8:9]
	v_mov_b32_e32 v1, s11
	v_add_co_u32_e32 v0, vcc, s10, v2
	s_cmp_eq_u32 s0, 0
	v_addc_co_u32_e32 v1, vcc, 0, v1, vcc
	s_waitcnt vmcnt(0)
	ds_write_b32 v2, v3
	; wave barrier
	s_cbranch_scc1 .LBB52_2
; %bb.1:
	ds_read_u8 v3, v2
	s_waitcnt lgkmcnt(0)
	global_store_byte v[0:1], v3, off
.LBB52_2:
	s_cmp_lt_u32 s0, 2
	s_cbranch_scc0 .LBB52_6
; %bb.3:
	ds_read_u16 v2, v2 offset:2
	s_cmp_lt_u32 s0, 3
	s_cbranch_scc0 .LBB52_7
.LBB52_4:
	s_cmp_lt_u32 s0, 4
	s_cbranch_scc0 .LBB52_8
.LBB52_5:
	s_endpgm
.LBB52_6:
	ds_read_u8 v3, v2 offset:1
	s_waitcnt lgkmcnt(0)
	global_store_byte v[0:1], v3, off offset:1
	ds_read_u16 v2, v2 offset:2
	s_cmp_lt_u32 s0, 3
	s_cbranch_scc1 .LBB52_4
.LBB52_7:
	s_waitcnt lgkmcnt(0)
	global_store_byte v[0:1], v2, off offset:2
	s_cmp_lt_u32 s0, 4
	s_cbranch_scc1 .LBB52_5
.LBB52_8:
	s_waitcnt lgkmcnt(0)
	v_lshrrev_b16_e32 v2, 8, v2
	global_store_byte v[0:1], v2, off offset:3
	s_endpgm
	.section	.rodata,"a",@progbits
	.p2align	6, 0x0
	.amdhsa_kernel _Z25warp_store_guarded_kernelILj1024ELj4ELj1ELN7rocprim17ROCPRIM_304000_NS17warp_store_methodE3EhEvPT3_S4_i
		.amdhsa_group_segment_fixed_size 4096
		.amdhsa_private_segment_fixed_size 0
		.amdhsa_kernarg_size 20
		.amdhsa_user_sgpr_count 6
		.amdhsa_user_sgpr_private_segment_buffer 1
		.amdhsa_user_sgpr_dispatch_ptr 0
		.amdhsa_user_sgpr_queue_ptr 0
		.amdhsa_user_sgpr_kernarg_segment_ptr 1
		.amdhsa_user_sgpr_dispatch_id 0
		.amdhsa_user_sgpr_flat_scratch_init 0
		.amdhsa_user_sgpr_private_segment_size 0
		.amdhsa_uses_dynamic_stack 0
		.amdhsa_system_sgpr_private_segment_wavefront_offset 0
		.amdhsa_system_sgpr_workgroup_id_x 1
		.amdhsa_system_sgpr_workgroup_id_y 0
		.amdhsa_system_sgpr_workgroup_id_z 0
		.amdhsa_system_sgpr_workgroup_info 0
		.amdhsa_system_vgpr_workitem_id 0
		.amdhsa_next_free_vgpr 29
		.amdhsa_next_free_sgpr 61
		.amdhsa_reserve_vcc 1
		.amdhsa_reserve_flat_scratch 0
		.amdhsa_float_round_mode_32 0
		.amdhsa_float_round_mode_16_64 0
		.amdhsa_float_denorm_mode_32 3
		.amdhsa_float_denorm_mode_16_64 3
		.amdhsa_dx10_clamp 1
		.amdhsa_ieee_mode 1
		.amdhsa_fp16_overflow 0
		.amdhsa_exception_fp_ieee_invalid_op 0
		.amdhsa_exception_fp_denorm_src 0
		.amdhsa_exception_fp_ieee_div_zero 0
		.amdhsa_exception_fp_ieee_overflow 0
		.amdhsa_exception_fp_ieee_underflow 0
		.amdhsa_exception_fp_ieee_inexact 0
		.amdhsa_exception_int_div_zero 0
	.end_amdhsa_kernel
	.section	.text._Z25warp_store_guarded_kernelILj1024ELj4ELj1ELN7rocprim17ROCPRIM_304000_NS17warp_store_methodE3EhEvPT3_S4_i,"axG",@progbits,_Z25warp_store_guarded_kernelILj1024ELj4ELj1ELN7rocprim17ROCPRIM_304000_NS17warp_store_methodE3EhEvPT3_S4_i,comdat
.Lfunc_end52:
	.size	_Z25warp_store_guarded_kernelILj1024ELj4ELj1ELN7rocprim17ROCPRIM_304000_NS17warp_store_methodE3EhEvPT3_S4_i, .Lfunc_end52-_Z25warp_store_guarded_kernelILj1024ELj4ELj1ELN7rocprim17ROCPRIM_304000_NS17warp_store_methodE3EhEvPT3_S4_i
                                        ; -- End function
	.set _Z25warp_store_guarded_kernelILj1024ELj4ELj1ELN7rocprim17ROCPRIM_304000_NS17warp_store_methodE3EhEvPT3_S4_i.num_vgpr, 4
	.set _Z25warp_store_guarded_kernelILj1024ELj4ELj1ELN7rocprim17ROCPRIM_304000_NS17warp_store_methodE3EhEvPT3_S4_i.num_agpr, 0
	.set _Z25warp_store_guarded_kernelILj1024ELj4ELj1ELN7rocprim17ROCPRIM_304000_NS17warp_store_methodE3EhEvPT3_S4_i.numbered_sgpr, 12
	.set _Z25warp_store_guarded_kernelILj1024ELj4ELj1ELN7rocprim17ROCPRIM_304000_NS17warp_store_methodE3EhEvPT3_S4_i.num_named_barrier, 0
	.set _Z25warp_store_guarded_kernelILj1024ELj4ELj1ELN7rocprim17ROCPRIM_304000_NS17warp_store_methodE3EhEvPT3_S4_i.private_seg_size, 0
	.set _Z25warp_store_guarded_kernelILj1024ELj4ELj1ELN7rocprim17ROCPRIM_304000_NS17warp_store_methodE3EhEvPT3_S4_i.uses_vcc, 1
	.set _Z25warp_store_guarded_kernelILj1024ELj4ELj1ELN7rocprim17ROCPRIM_304000_NS17warp_store_methodE3EhEvPT3_S4_i.uses_flat_scratch, 0
	.set _Z25warp_store_guarded_kernelILj1024ELj4ELj1ELN7rocprim17ROCPRIM_304000_NS17warp_store_methodE3EhEvPT3_S4_i.has_dyn_sized_stack, 0
	.set _Z25warp_store_guarded_kernelILj1024ELj4ELj1ELN7rocprim17ROCPRIM_304000_NS17warp_store_methodE3EhEvPT3_S4_i.has_recursion, 0
	.set _Z25warp_store_guarded_kernelILj1024ELj4ELj1ELN7rocprim17ROCPRIM_304000_NS17warp_store_methodE3EhEvPT3_S4_i.has_indirect_call, 0
	.section	.AMDGPU.csdata,"",@progbits
; Kernel info:
; codeLenInByte = 196
; TotalNumSgprs: 16
; NumVgprs: 4
; ScratchSize: 0
; MemoryBound: 0
; FloatMode: 240
; IeeeMode: 1
; LDSByteSize: 4096 bytes/workgroup (compile time only)
; SGPRBlocks: 8
; VGPRBlocks: 7
; NumSGPRsForWavesPerEU: 65
; NumVGPRsForWavesPerEU: 29
; Occupancy: 8
; WaveLimiterHint : 0
; COMPUTE_PGM_RSRC2:SCRATCH_EN: 0
; COMPUTE_PGM_RSRC2:USER_SGPR: 6
; COMPUTE_PGM_RSRC2:TRAP_HANDLER: 0
; COMPUTE_PGM_RSRC2:TGID_X_EN: 1
; COMPUTE_PGM_RSRC2:TGID_Y_EN: 0
; COMPUTE_PGM_RSRC2:TGID_Z_EN: 0
; COMPUTE_PGM_RSRC2:TIDIG_COMP_CNT: 0
	.section	.text._Z25warp_store_guarded_kernelILj1024ELj4ELj1ELN7rocprim17ROCPRIM_304000_NS17warp_store_methodE2EhEvPT3_S4_i,"axG",@progbits,_Z25warp_store_guarded_kernelILj1024ELj4ELj1ELN7rocprim17ROCPRIM_304000_NS17warp_store_methodE2EhEvPT3_S4_i,comdat
	.protected	_Z25warp_store_guarded_kernelILj1024ELj4ELj1ELN7rocprim17ROCPRIM_304000_NS17warp_store_methodE2EhEvPT3_S4_i ; -- Begin function _Z25warp_store_guarded_kernelILj1024ELj4ELj1ELN7rocprim17ROCPRIM_304000_NS17warp_store_methodE2EhEvPT3_S4_i
	.globl	_Z25warp_store_guarded_kernelILj1024ELj4ELj1ELN7rocprim17ROCPRIM_304000_NS17warp_store_methodE2EhEvPT3_S4_i
	.p2align	8
	.type	_Z25warp_store_guarded_kernelILj1024ELj4ELj1ELN7rocprim17ROCPRIM_304000_NS17warp_store_methodE2EhEvPT3_S4_i,@function
_Z25warp_store_guarded_kernelILj1024ELj4ELj1ELN7rocprim17ROCPRIM_304000_NS17warp_store_methodE2EhEvPT3_S4_i: ; @_Z25warp_store_guarded_kernelILj1024ELj4ELj1ELN7rocprim17ROCPRIM_304000_NS17warp_store_methodE2EhEvPT3_S4_i
; %bb.0:
	s_load_dwordx4 s[0:3], s[4:5], 0x0
	s_load_dword s6, s[4:5], 0x10
	v_lshlrev_b32_e32 v3, 2, v0
	v_mov_b32_e32 v1, 8
	s_waitcnt lgkmcnt(0)
	global_load_ushort v0, v3, s[0:1] offset:1
	global_load_ubyte v2, v3, s[0:1] offset:3
	v_mov_b32_e32 v5, s3
	s_cmp_eq_u32 s6, 0
	s_waitcnt vmcnt(1)
	v_lshrrev_b32_sdwa v1, v1, v0 dst_sel:BYTE_1 dst_unused:UNUSED_PAD src0_sel:DWORD src1_sel:DWORD
	v_or_b32_sdwa v0, v0, v1 dst_sel:DWORD dst_unused:UNUSED_PAD src0_sel:BYTE_0 src1_sel:DWORD
	v_and_b32_e32 v4, 0xffff, v0
	v_add_co_u32_e32 v0, vcc, s2, v3
	v_addc_co_u32_e32 v1, vcc, 0, v5, vcc
	s_cbranch_scc1 .LBB53_2
; %bb.1:
	v_mov_b32_e32 v6, s1
	v_add_co_u32_e32 v5, vcc, s0, v3
	v_addc_co_u32_e32 v6, vcc, 0, v6, vcc
	global_load_ubyte v3, v[5:6], off
	s_waitcnt vmcnt(0)
	global_store_byte v[0:1], v3, off
.LBB53_2:
	s_cmp_lt_u32 s6, 2
	s_waitcnt vmcnt(0)
	v_lshl_or_b32 v2, v2, 16, v4
	s_cbranch_scc0 .LBB53_6
; %bb.3:
	s_cmp_lt_u32 s6, 3
	s_cbranch_scc0 .LBB53_7
.LBB53_4:
	s_cmp_lt_u32 s6, 4
	s_cbranch_scc0 .LBB53_8
.LBB53_5:
	s_endpgm
.LBB53_6:
	global_store_byte v[0:1], v2, off offset:1
	s_cmp_lt_u32 s6, 3
	s_cbranch_scc1 .LBB53_4
.LBB53_7:
	v_lshrrev_b32_e32 v3, 8, v2
	global_store_byte v[0:1], v3, off offset:2
	s_cmp_lt_u32 s6, 4
	s_cbranch_scc1 .LBB53_5
.LBB53_8:
	global_store_byte_d16_hi v[0:1], v2, off offset:3
	s_endpgm
	.section	.rodata,"a",@progbits
	.p2align	6, 0x0
	.amdhsa_kernel _Z25warp_store_guarded_kernelILj1024ELj4ELj1ELN7rocprim17ROCPRIM_304000_NS17warp_store_methodE2EhEvPT3_S4_i
		.amdhsa_group_segment_fixed_size 0
		.amdhsa_private_segment_fixed_size 0
		.amdhsa_kernarg_size 20
		.amdhsa_user_sgpr_count 6
		.amdhsa_user_sgpr_private_segment_buffer 1
		.amdhsa_user_sgpr_dispatch_ptr 0
		.amdhsa_user_sgpr_queue_ptr 0
		.amdhsa_user_sgpr_kernarg_segment_ptr 1
		.amdhsa_user_sgpr_dispatch_id 0
		.amdhsa_user_sgpr_flat_scratch_init 0
		.amdhsa_user_sgpr_private_segment_size 0
		.amdhsa_uses_dynamic_stack 0
		.amdhsa_system_sgpr_private_segment_wavefront_offset 0
		.amdhsa_system_sgpr_workgroup_id_x 1
		.amdhsa_system_sgpr_workgroup_id_y 0
		.amdhsa_system_sgpr_workgroup_id_z 0
		.amdhsa_system_sgpr_workgroup_info 0
		.amdhsa_system_vgpr_workitem_id 0
		.amdhsa_next_free_vgpr 7
		.amdhsa_next_free_sgpr 7
		.amdhsa_reserve_vcc 1
		.amdhsa_reserve_flat_scratch 0
		.amdhsa_float_round_mode_32 0
		.amdhsa_float_round_mode_16_64 0
		.amdhsa_float_denorm_mode_32 3
		.amdhsa_float_denorm_mode_16_64 3
		.amdhsa_dx10_clamp 1
		.amdhsa_ieee_mode 1
		.amdhsa_fp16_overflow 0
		.amdhsa_exception_fp_ieee_invalid_op 0
		.amdhsa_exception_fp_denorm_src 0
		.amdhsa_exception_fp_ieee_div_zero 0
		.amdhsa_exception_fp_ieee_overflow 0
		.amdhsa_exception_fp_ieee_underflow 0
		.amdhsa_exception_fp_ieee_inexact 0
		.amdhsa_exception_int_div_zero 0
	.end_amdhsa_kernel
	.section	.text._Z25warp_store_guarded_kernelILj1024ELj4ELj1ELN7rocprim17ROCPRIM_304000_NS17warp_store_methodE2EhEvPT3_S4_i,"axG",@progbits,_Z25warp_store_guarded_kernelILj1024ELj4ELj1ELN7rocprim17ROCPRIM_304000_NS17warp_store_methodE2EhEvPT3_S4_i,comdat
.Lfunc_end53:
	.size	_Z25warp_store_guarded_kernelILj1024ELj4ELj1ELN7rocprim17ROCPRIM_304000_NS17warp_store_methodE2EhEvPT3_S4_i, .Lfunc_end53-_Z25warp_store_guarded_kernelILj1024ELj4ELj1ELN7rocprim17ROCPRIM_304000_NS17warp_store_methodE2EhEvPT3_S4_i
                                        ; -- End function
	.set _Z25warp_store_guarded_kernelILj1024ELj4ELj1ELN7rocprim17ROCPRIM_304000_NS17warp_store_methodE2EhEvPT3_S4_i.num_vgpr, 7
	.set _Z25warp_store_guarded_kernelILj1024ELj4ELj1ELN7rocprim17ROCPRIM_304000_NS17warp_store_methodE2EhEvPT3_S4_i.num_agpr, 0
	.set _Z25warp_store_guarded_kernelILj1024ELj4ELj1ELN7rocprim17ROCPRIM_304000_NS17warp_store_methodE2EhEvPT3_S4_i.numbered_sgpr, 7
	.set _Z25warp_store_guarded_kernelILj1024ELj4ELj1ELN7rocprim17ROCPRIM_304000_NS17warp_store_methodE2EhEvPT3_S4_i.num_named_barrier, 0
	.set _Z25warp_store_guarded_kernelILj1024ELj4ELj1ELN7rocprim17ROCPRIM_304000_NS17warp_store_methodE2EhEvPT3_S4_i.private_seg_size, 0
	.set _Z25warp_store_guarded_kernelILj1024ELj4ELj1ELN7rocprim17ROCPRIM_304000_NS17warp_store_methodE2EhEvPT3_S4_i.uses_vcc, 1
	.set _Z25warp_store_guarded_kernelILj1024ELj4ELj1ELN7rocprim17ROCPRIM_304000_NS17warp_store_methodE2EhEvPT3_S4_i.uses_flat_scratch, 0
	.set _Z25warp_store_guarded_kernelILj1024ELj4ELj1ELN7rocprim17ROCPRIM_304000_NS17warp_store_methodE2EhEvPT3_S4_i.has_dyn_sized_stack, 0
	.set _Z25warp_store_guarded_kernelILj1024ELj4ELj1ELN7rocprim17ROCPRIM_304000_NS17warp_store_methodE2EhEvPT3_S4_i.has_recursion, 0
	.set _Z25warp_store_guarded_kernelILj1024ELj4ELj1ELN7rocprim17ROCPRIM_304000_NS17warp_store_methodE2EhEvPT3_S4_i.has_indirect_call, 0
	.section	.AMDGPU.csdata,"",@progbits
; Kernel info:
; codeLenInByte = 212
; TotalNumSgprs: 11
; NumVgprs: 7
; ScratchSize: 0
; MemoryBound: 0
; FloatMode: 240
; IeeeMode: 1
; LDSByteSize: 0 bytes/workgroup (compile time only)
; SGPRBlocks: 1
; VGPRBlocks: 1
; NumSGPRsForWavesPerEU: 11
; NumVGPRsForWavesPerEU: 7
; Occupancy: 10
; WaveLimiterHint : 0
; COMPUTE_PGM_RSRC2:SCRATCH_EN: 0
; COMPUTE_PGM_RSRC2:USER_SGPR: 6
; COMPUTE_PGM_RSRC2:TRAP_HANDLER: 0
; COMPUTE_PGM_RSRC2:TGID_X_EN: 1
; COMPUTE_PGM_RSRC2:TGID_Y_EN: 0
; COMPUTE_PGM_RSRC2:TGID_Z_EN: 0
; COMPUTE_PGM_RSRC2:TIDIG_COMP_CNT: 0
	.section	.text._Z25warp_store_guarded_kernelILj1024ELj4ELj1ELN7rocprim17ROCPRIM_304000_NS17warp_store_methodE1EhEvPT3_S4_i,"axG",@progbits,_Z25warp_store_guarded_kernelILj1024ELj4ELj1ELN7rocprim17ROCPRIM_304000_NS17warp_store_methodE1EhEvPT3_S4_i,comdat
	.protected	_Z25warp_store_guarded_kernelILj1024ELj4ELj1ELN7rocprim17ROCPRIM_304000_NS17warp_store_methodE1EhEvPT3_S4_i ; -- Begin function _Z25warp_store_guarded_kernelILj1024ELj4ELj1ELN7rocprim17ROCPRIM_304000_NS17warp_store_methodE1EhEvPT3_S4_i
	.globl	_Z25warp_store_guarded_kernelILj1024ELj4ELj1ELN7rocprim17ROCPRIM_304000_NS17warp_store_methodE1EhEvPT3_S4_i
	.p2align	8
	.type	_Z25warp_store_guarded_kernelILj1024ELj4ELj1ELN7rocprim17ROCPRIM_304000_NS17warp_store_methodE1EhEvPT3_S4_i,@function
_Z25warp_store_guarded_kernelILj1024ELj4ELj1ELN7rocprim17ROCPRIM_304000_NS17warp_store_methodE1EhEvPT3_S4_i: ; @_Z25warp_store_guarded_kernelILj1024ELj4ELj1ELN7rocprim17ROCPRIM_304000_NS17warp_store_methodE1EhEvPT3_S4_i
; %bb.0:
	s_load_dwordx4 s[0:3], s[4:5], 0x0
	s_load_dword s6, s[4:5], 0x10
	v_lshlrev_b32_e32 v3, 2, v0
	v_mov_b32_e32 v1, 8
	s_waitcnt lgkmcnt(0)
	global_load_ushort v0, v3, s[0:1] offset:1
	global_load_ubyte v2, v3, s[0:1] offset:3
	v_mov_b32_e32 v5, s3
	s_cmp_eq_u32 s6, 0
	s_waitcnt vmcnt(1)
	v_lshrrev_b32_sdwa v1, v1, v0 dst_sel:BYTE_1 dst_unused:UNUSED_PAD src0_sel:DWORD src1_sel:DWORD
	v_or_b32_sdwa v0, v0, v1 dst_sel:DWORD dst_unused:UNUSED_PAD src0_sel:BYTE_0 src1_sel:DWORD
	v_and_b32_e32 v4, 0xffff, v0
	v_add_co_u32_e32 v0, vcc, s2, v3
	v_addc_co_u32_e32 v1, vcc, 0, v5, vcc
	s_cbranch_scc1 .LBB54_2
; %bb.1:
	v_mov_b32_e32 v6, s1
	v_add_co_u32_e32 v5, vcc, s0, v3
	v_addc_co_u32_e32 v6, vcc, 0, v6, vcc
	global_load_ubyte v3, v[5:6], off
	s_waitcnt vmcnt(0)
	global_store_byte v[0:1], v3, off
.LBB54_2:
	s_cmp_lt_u32 s6, 2
	s_waitcnt vmcnt(0)
	v_lshl_or_b32 v2, v2, 16, v4
	s_cbranch_scc0 .LBB54_6
; %bb.3:
	s_cmp_lt_u32 s6, 3
	s_cbranch_scc0 .LBB54_7
.LBB54_4:
	s_cmp_lt_u32 s6, 4
	s_cbranch_scc0 .LBB54_8
.LBB54_5:
	s_endpgm
.LBB54_6:
	global_store_byte v[0:1], v2, off offset:1
	s_cmp_lt_u32 s6, 3
	s_cbranch_scc1 .LBB54_4
.LBB54_7:
	v_lshrrev_b32_e32 v3, 8, v2
	global_store_byte v[0:1], v3, off offset:2
	s_cmp_lt_u32 s6, 4
	s_cbranch_scc1 .LBB54_5
.LBB54_8:
	global_store_byte_d16_hi v[0:1], v2, off offset:3
	s_endpgm
	.section	.rodata,"a",@progbits
	.p2align	6, 0x0
	.amdhsa_kernel _Z25warp_store_guarded_kernelILj1024ELj4ELj1ELN7rocprim17ROCPRIM_304000_NS17warp_store_methodE1EhEvPT3_S4_i
		.amdhsa_group_segment_fixed_size 0
		.amdhsa_private_segment_fixed_size 0
		.amdhsa_kernarg_size 20
		.amdhsa_user_sgpr_count 6
		.amdhsa_user_sgpr_private_segment_buffer 1
		.amdhsa_user_sgpr_dispatch_ptr 0
		.amdhsa_user_sgpr_queue_ptr 0
		.amdhsa_user_sgpr_kernarg_segment_ptr 1
		.amdhsa_user_sgpr_dispatch_id 0
		.amdhsa_user_sgpr_flat_scratch_init 0
		.amdhsa_user_sgpr_private_segment_size 0
		.amdhsa_uses_dynamic_stack 0
		.amdhsa_system_sgpr_private_segment_wavefront_offset 0
		.amdhsa_system_sgpr_workgroup_id_x 1
		.amdhsa_system_sgpr_workgroup_id_y 0
		.amdhsa_system_sgpr_workgroup_id_z 0
		.amdhsa_system_sgpr_workgroup_info 0
		.amdhsa_system_vgpr_workitem_id 0
		.amdhsa_next_free_vgpr 7
		.amdhsa_next_free_sgpr 7
		.amdhsa_reserve_vcc 1
		.amdhsa_reserve_flat_scratch 0
		.amdhsa_float_round_mode_32 0
		.amdhsa_float_round_mode_16_64 0
		.amdhsa_float_denorm_mode_32 3
		.amdhsa_float_denorm_mode_16_64 3
		.amdhsa_dx10_clamp 1
		.amdhsa_ieee_mode 1
		.amdhsa_fp16_overflow 0
		.amdhsa_exception_fp_ieee_invalid_op 0
		.amdhsa_exception_fp_denorm_src 0
		.amdhsa_exception_fp_ieee_div_zero 0
		.amdhsa_exception_fp_ieee_overflow 0
		.amdhsa_exception_fp_ieee_underflow 0
		.amdhsa_exception_fp_ieee_inexact 0
		.amdhsa_exception_int_div_zero 0
	.end_amdhsa_kernel
	.section	.text._Z25warp_store_guarded_kernelILj1024ELj4ELj1ELN7rocprim17ROCPRIM_304000_NS17warp_store_methodE1EhEvPT3_S4_i,"axG",@progbits,_Z25warp_store_guarded_kernelILj1024ELj4ELj1ELN7rocprim17ROCPRIM_304000_NS17warp_store_methodE1EhEvPT3_S4_i,comdat
.Lfunc_end54:
	.size	_Z25warp_store_guarded_kernelILj1024ELj4ELj1ELN7rocprim17ROCPRIM_304000_NS17warp_store_methodE1EhEvPT3_S4_i, .Lfunc_end54-_Z25warp_store_guarded_kernelILj1024ELj4ELj1ELN7rocprim17ROCPRIM_304000_NS17warp_store_methodE1EhEvPT3_S4_i
                                        ; -- End function
	.set _Z25warp_store_guarded_kernelILj1024ELj4ELj1ELN7rocprim17ROCPRIM_304000_NS17warp_store_methodE1EhEvPT3_S4_i.num_vgpr, 7
	.set _Z25warp_store_guarded_kernelILj1024ELj4ELj1ELN7rocprim17ROCPRIM_304000_NS17warp_store_methodE1EhEvPT3_S4_i.num_agpr, 0
	.set _Z25warp_store_guarded_kernelILj1024ELj4ELj1ELN7rocprim17ROCPRIM_304000_NS17warp_store_methodE1EhEvPT3_S4_i.numbered_sgpr, 7
	.set _Z25warp_store_guarded_kernelILj1024ELj4ELj1ELN7rocprim17ROCPRIM_304000_NS17warp_store_methodE1EhEvPT3_S4_i.num_named_barrier, 0
	.set _Z25warp_store_guarded_kernelILj1024ELj4ELj1ELN7rocprim17ROCPRIM_304000_NS17warp_store_methodE1EhEvPT3_S4_i.private_seg_size, 0
	.set _Z25warp_store_guarded_kernelILj1024ELj4ELj1ELN7rocprim17ROCPRIM_304000_NS17warp_store_methodE1EhEvPT3_S4_i.uses_vcc, 1
	.set _Z25warp_store_guarded_kernelILj1024ELj4ELj1ELN7rocprim17ROCPRIM_304000_NS17warp_store_methodE1EhEvPT3_S4_i.uses_flat_scratch, 0
	.set _Z25warp_store_guarded_kernelILj1024ELj4ELj1ELN7rocprim17ROCPRIM_304000_NS17warp_store_methodE1EhEvPT3_S4_i.has_dyn_sized_stack, 0
	.set _Z25warp_store_guarded_kernelILj1024ELj4ELj1ELN7rocprim17ROCPRIM_304000_NS17warp_store_methodE1EhEvPT3_S4_i.has_recursion, 0
	.set _Z25warp_store_guarded_kernelILj1024ELj4ELj1ELN7rocprim17ROCPRIM_304000_NS17warp_store_methodE1EhEvPT3_S4_i.has_indirect_call, 0
	.section	.AMDGPU.csdata,"",@progbits
; Kernel info:
; codeLenInByte = 212
; TotalNumSgprs: 11
; NumVgprs: 7
; ScratchSize: 0
; MemoryBound: 0
; FloatMode: 240
; IeeeMode: 1
; LDSByteSize: 0 bytes/workgroup (compile time only)
; SGPRBlocks: 1
; VGPRBlocks: 1
; NumSGPRsForWavesPerEU: 11
; NumVGPRsForWavesPerEU: 7
; Occupancy: 10
; WaveLimiterHint : 0
; COMPUTE_PGM_RSRC2:SCRATCH_EN: 0
; COMPUTE_PGM_RSRC2:USER_SGPR: 6
; COMPUTE_PGM_RSRC2:TRAP_HANDLER: 0
; COMPUTE_PGM_RSRC2:TGID_X_EN: 1
; COMPUTE_PGM_RSRC2:TGID_Y_EN: 0
; COMPUTE_PGM_RSRC2:TGID_Z_EN: 0
; COMPUTE_PGM_RSRC2:TIDIG_COMP_CNT: 0
	.section	.text._Z25warp_store_guarded_kernelILj1024ELj4ELj1ELN7rocprim17ROCPRIM_304000_NS17warp_store_methodE0EhEvPT3_S4_i,"axG",@progbits,_Z25warp_store_guarded_kernelILj1024ELj4ELj1ELN7rocprim17ROCPRIM_304000_NS17warp_store_methodE0EhEvPT3_S4_i,comdat
	.protected	_Z25warp_store_guarded_kernelILj1024ELj4ELj1ELN7rocprim17ROCPRIM_304000_NS17warp_store_methodE0EhEvPT3_S4_i ; -- Begin function _Z25warp_store_guarded_kernelILj1024ELj4ELj1ELN7rocprim17ROCPRIM_304000_NS17warp_store_methodE0EhEvPT3_S4_i
	.globl	_Z25warp_store_guarded_kernelILj1024ELj4ELj1ELN7rocprim17ROCPRIM_304000_NS17warp_store_methodE0EhEvPT3_S4_i
	.p2align	8
	.type	_Z25warp_store_guarded_kernelILj1024ELj4ELj1ELN7rocprim17ROCPRIM_304000_NS17warp_store_methodE0EhEvPT3_S4_i,@function
_Z25warp_store_guarded_kernelILj1024ELj4ELj1ELN7rocprim17ROCPRIM_304000_NS17warp_store_methodE0EhEvPT3_S4_i: ; @_Z25warp_store_guarded_kernelILj1024ELj4ELj1ELN7rocprim17ROCPRIM_304000_NS17warp_store_methodE0EhEvPT3_S4_i
; %bb.0:
	s_load_dwordx4 s[0:3], s[4:5], 0x0
	s_load_dword s6, s[4:5], 0x10
	v_lshlrev_b32_e32 v3, 2, v0
	v_mov_b32_e32 v1, 8
	s_waitcnt lgkmcnt(0)
	global_load_ushort v0, v3, s[0:1] offset:1
	global_load_ubyte v2, v3, s[0:1] offset:3
	v_mov_b32_e32 v5, s3
	s_cmp_eq_u32 s6, 0
	s_waitcnt vmcnt(1)
	v_lshrrev_b32_sdwa v1, v1, v0 dst_sel:BYTE_1 dst_unused:UNUSED_PAD src0_sel:DWORD src1_sel:DWORD
	v_or_b32_sdwa v0, v0, v1 dst_sel:DWORD dst_unused:UNUSED_PAD src0_sel:BYTE_0 src1_sel:DWORD
	v_and_b32_e32 v4, 0xffff, v0
	v_add_co_u32_e32 v0, vcc, s2, v3
	v_addc_co_u32_e32 v1, vcc, 0, v5, vcc
	s_cbranch_scc1 .LBB55_2
; %bb.1:
	v_mov_b32_e32 v6, s1
	v_add_co_u32_e32 v5, vcc, s0, v3
	v_addc_co_u32_e32 v6, vcc, 0, v6, vcc
	global_load_ubyte v3, v[5:6], off
	s_waitcnt vmcnt(0)
	global_store_byte v[0:1], v3, off
.LBB55_2:
	s_cmp_lt_u32 s6, 2
	s_waitcnt vmcnt(0)
	v_lshl_or_b32 v2, v2, 16, v4
	s_cbranch_scc0 .LBB55_6
; %bb.3:
	s_cmp_lt_u32 s6, 3
	s_cbranch_scc0 .LBB55_7
.LBB55_4:
	s_cmp_lt_u32 s6, 4
	s_cbranch_scc0 .LBB55_8
.LBB55_5:
	s_endpgm
.LBB55_6:
	global_store_byte v[0:1], v2, off offset:1
	s_cmp_lt_u32 s6, 3
	s_cbranch_scc1 .LBB55_4
.LBB55_7:
	v_lshrrev_b32_e32 v3, 8, v2
	global_store_byte v[0:1], v3, off offset:2
	s_cmp_lt_u32 s6, 4
	s_cbranch_scc1 .LBB55_5
.LBB55_8:
	global_store_byte_d16_hi v[0:1], v2, off offset:3
	s_endpgm
	.section	.rodata,"a",@progbits
	.p2align	6, 0x0
	.amdhsa_kernel _Z25warp_store_guarded_kernelILj1024ELj4ELj1ELN7rocprim17ROCPRIM_304000_NS17warp_store_methodE0EhEvPT3_S4_i
		.amdhsa_group_segment_fixed_size 0
		.amdhsa_private_segment_fixed_size 0
		.amdhsa_kernarg_size 20
		.amdhsa_user_sgpr_count 6
		.amdhsa_user_sgpr_private_segment_buffer 1
		.amdhsa_user_sgpr_dispatch_ptr 0
		.amdhsa_user_sgpr_queue_ptr 0
		.amdhsa_user_sgpr_kernarg_segment_ptr 1
		.amdhsa_user_sgpr_dispatch_id 0
		.amdhsa_user_sgpr_flat_scratch_init 0
		.amdhsa_user_sgpr_private_segment_size 0
		.amdhsa_uses_dynamic_stack 0
		.amdhsa_system_sgpr_private_segment_wavefront_offset 0
		.amdhsa_system_sgpr_workgroup_id_x 1
		.amdhsa_system_sgpr_workgroup_id_y 0
		.amdhsa_system_sgpr_workgroup_id_z 0
		.amdhsa_system_sgpr_workgroup_info 0
		.amdhsa_system_vgpr_workitem_id 0
		.amdhsa_next_free_vgpr 7
		.amdhsa_next_free_sgpr 7
		.amdhsa_reserve_vcc 1
		.amdhsa_reserve_flat_scratch 0
		.amdhsa_float_round_mode_32 0
		.amdhsa_float_round_mode_16_64 0
		.amdhsa_float_denorm_mode_32 3
		.amdhsa_float_denorm_mode_16_64 3
		.amdhsa_dx10_clamp 1
		.amdhsa_ieee_mode 1
		.amdhsa_fp16_overflow 0
		.amdhsa_exception_fp_ieee_invalid_op 0
		.amdhsa_exception_fp_denorm_src 0
		.amdhsa_exception_fp_ieee_div_zero 0
		.amdhsa_exception_fp_ieee_overflow 0
		.amdhsa_exception_fp_ieee_underflow 0
		.amdhsa_exception_fp_ieee_inexact 0
		.amdhsa_exception_int_div_zero 0
	.end_amdhsa_kernel
	.section	.text._Z25warp_store_guarded_kernelILj1024ELj4ELj1ELN7rocprim17ROCPRIM_304000_NS17warp_store_methodE0EhEvPT3_S4_i,"axG",@progbits,_Z25warp_store_guarded_kernelILj1024ELj4ELj1ELN7rocprim17ROCPRIM_304000_NS17warp_store_methodE0EhEvPT3_S4_i,comdat
.Lfunc_end55:
	.size	_Z25warp_store_guarded_kernelILj1024ELj4ELj1ELN7rocprim17ROCPRIM_304000_NS17warp_store_methodE0EhEvPT3_S4_i, .Lfunc_end55-_Z25warp_store_guarded_kernelILj1024ELj4ELj1ELN7rocprim17ROCPRIM_304000_NS17warp_store_methodE0EhEvPT3_S4_i
                                        ; -- End function
	.set _Z25warp_store_guarded_kernelILj1024ELj4ELj1ELN7rocprim17ROCPRIM_304000_NS17warp_store_methodE0EhEvPT3_S4_i.num_vgpr, 7
	.set _Z25warp_store_guarded_kernelILj1024ELj4ELj1ELN7rocprim17ROCPRIM_304000_NS17warp_store_methodE0EhEvPT3_S4_i.num_agpr, 0
	.set _Z25warp_store_guarded_kernelILj1024ELj4ELj1ELN7rocprim17ROCPRIM_304000_NS17warp_store_methodE0EhEvPT3_S4_i.numbered_sgpr, 7
	.set _Z25warp_store_guarded_kernelILj1024ELj4ELj1ELN7rocprim17ROCPRIM_304000_NS17warp_store_methodE0EhEvPT3_S4_i.num_named_barrier, 0
	.set _Z25warp_store_guarded_kernelILj1024ELj4ELj1ELN7rocprim17ROCPRIM_304000_NS17warp_store_methodE0EhEvPT3_S4_i.private_seg_size, 0
	.set _Z25warp_store_guarded_kernelILj1024ELj4ELj1ELN7rocprim17ROCPRIM_304000_NS17warp_store_methodE0EhEvPT3_S4_i.uses_vcc, 1
	.set _Z25warp_store_guarded_kernelILj1024ELj4ELj1ELN7rocprim17ROCPRIM_304000_NS17warp_store_methodE0EhEvPT3_S4_i.uses_flat_scratch, 0
	.set _Z25warp_store_guarded_kernelILj1024ELj4ELj1ELN7rocprim17ROCPRIM_304000_NS17warp_store_methodE0EhEvPT3_S4_i.has_dyn_sized_stack, 0
	.set _Z25warp_store_guarded_kernelILj1024ELj4ELj1ELN7rocprim17ROCPRIM_304000_NS17warp_store_methodE0EhEvPT3_S4_i.has_recursion, 0
	.set _Z25warp_store_guarded_kernelILj1024ELj4ELj1ELN7rocprim17ROCPRIM_304000_NS17warp_store_methodE0EhEvPT3_S4_i.has_indirect_call, 0
	.section	.AMDGPU.csdata,"",@progbits
; Kernel info:
; codeLenInByte = 212
; TotalNumSgprs: 11
; NumVgprs: 7
; ScratchSize: 0
; MemoryBound: 0
; FloatMode: 240
; IeeeMode: 1
; LDSByteSize: 0 bytes/workgroup (compile time only)
; SGPRBlocks: 1
; VGPRBlocks: 1
; NumSGPRsForWavesPerEU: 11
; NumVGPRsForWavesPerEU: 7
; Occupancy: 10
; WaveLimiterHint : 0
; COMPUTE_PGM_RSRC2:SCRATCH_EN: 0
; COMPUTE_PGM_RSRC2:USER_SGPR: 6
; COMPUTE_PGM_RSRC2:TRAP_HANDLER: 0
; COMPUTE_PGM_RSRC2:TGID_X_EN: 1
; COMPUTE_PGM_RSRC2:TGID_Y_EN: 0
; COMPUTE_PGM_RSRC2:TGID_Z_EN: 0
; COMPUTE_PGM_RSRC2:TIDIG_COMP_CNT: 0
	.section	.text._Z25warp_store_guarded_kernelILj1024ELj4ELj1ELN7rocprim17ROCPRIM_304000_NS17warp_store_methodE3EaEvPT3_S4_i,"axG",@progbits,_Z25warp_store_guarded_kernelILj1024ELj4ELj1ELN7rocprim17ROCPRIM_304000_NS17warp_store_methodE3EaEvPT3_S4_i,comdat
	.protected	_Z25warp_store_guarded_kernelILj1024ELj4ELj1ELN7rocprim17ROCPRIM_304000_NS17warp_store_methodE3EaEvPT3_S4_i ; -- Begin function _Z25warp_store_guarded_kernelILj1024ELj4ELj1ELN7rocprim17ROCPRIM_304000_NS17warp_store_methodE3EaEvPT3_S4_i
	.globl	_Z25warp_store_guarded_kernelILj1024ELj4ELj1ELN7rocprim17ROCPRIM_304000_NS17warp_store_methodE3EaEvPT3_S4_i
	.p2align	8
	.type	_Z25warp_store_guarded_kernelILj1024ELj4ELj1ELN7rocprim17ROCPRIM_304000_NS17warp_store_methodE3EaEvPT3_S4_i,@function
_Z25warp_store_guarded_kernelILj1024ELj4ELj1ELN7rocprim17ROCPRIM_304000_NS17warp_store_methodE3EaEvPT3_S4_i: ; @_Z25warp_store_guarded_kernelILj1024ELj4ELj1ELN7rocprim17ROCPRIM_304000_NS17warp_store_methodE3EaEvPT3_S4_i
; %bb.0:
	s_load_dwordx4 s[8:11], s[4:5], 0x0
	s_load_dword s0, s[4:5], 0x10
	v_lshlrev_b32_e32 v2, 2, v0
	s_waitcnt lgkmcnt(0)
	global_load_dword v3, v2, s[8:9]
	v_mov_b32_e32 v1, s11
	v_add_co_u32_e32 v0, vcc, s10, v2
	s_cmp_eq_u32 s0, 0
	v_addc_co_u32_e32 v1, vcc, 0, v1, vcc
	s_waitcnt vmcnt(0)
	ds_write_b32 v2, v3
	; wave barrier
	s_cbranch_scc1 .LBB56_2
; %bb.1:
	ds_read_u8 v3, v2
	s_waitcnt lgkmcnt(0)
	global_store_byte v[0:1], v3, off
.LBB56_2:
	s_cmp_lt_u32 s0, 2
	s_cbranch_scc0 .LBB56_6
; %bb.3:
	ds_read_u16 v2, v2 offset:2
	s_cmp_lt_u32 s0, 3
	s_cbranch_scc0 .LBB56_7
.LBB56_4:
	s_cmp_lt_u32 s0, 4
	s_cbranch_scc0 .LBB56_8
.LBB56_5:
	s_endpgm
.LBB56_6:
	ds_read_u8 v3, v2 offset:1
	s_waitcnt lgkmcnt(0)
	global_store_byte v[0:1], v3, off offset:1
	ds_read_u16 v2, v2 offset:2
	s_cmp_lt_u32 s0, 3
	s_cbranch_scc1 .LBB56_4
.LBB56_7:
	s_waitcnt lgkmcnt(0)
	global_store_byte v[0:1], v2, off offset:2
	s_cmp_lt_u32 s0, 4
	s_cbranch_scc1 .LBB56_5
.LBB56_8:
	s_waitcnt lgkmcnt(0)
	v_lshrrev_b16_e32 v2, 8, v2
	global_store_byte v[0:1], v2, off offset:3
	s_endpgm
	.section	.rodata,"a",@progbits
	.p2align	6, 0x0
	.amdhsa_kernel _Z25warp_store_guarded_kernelILj1024ELj4ELj1ELN7rocprim17ROCPRIM_304000_NS17warp_store_methodE3EaEvPT3_S4_i
		.amdhsa_group_segment_fixed_size 4096
		.amdhsa_private_segment_fixed_size 0
		.amdhsa_kernarg_size 20
		.amdhsa_user_sgpr_count 6
		.amdhsa_user_sgpr_private_segment_buffer 1
		.amdhsa_user_sgpr_dispatch_ptr 0
		.amdhsa_user_sgpr_queue_ptr 0
		.amdhsa_user_sgpr_kernarg_segment_ptr 1
		.amdhsa_user_sgpr_dispatch_id 0
		.amdhsa_user_sgpr_flat_scratch_init 0
		.amdhsa_user_sgpr_private_segment_size 0
		.amdhsa_uses_dynamic_stack 0
		.amdhsa_system_sgpr_private_segment_wavefront_offset 0
		.amdhsa_system_sgpr_workgroup_id_x 1
		.amdhsa_system_sgpr_workgroup_id_y 0
		.amdhsa_system_sgpr_workgroup_id_z 0
		.amdhsa_system_sgpr_workgroup_info 0
		.amdhsa_system_vgpr_workitem_id 0
		.amdhsa_next_free_vgpr 29
		.amdhsa_next_free_sgpr 61
		.amdhsa_reserve_vcc 1
		.amdhsa_reserve_flat_scratch 0
		.amdhsa_float_round_mode_32 0
		.amdhsa_float_round_mode_16_64 0
		.amdhsa_float_denorm_mode_32 3
		.amdhsa_float_denorm_mode_16_64 3
		.amdhsa_dx10_clamp 1
		.amdhsa_ieee_mode 1
		.amdhsa_fp16_overflow 0
		.amdhsa_exception_fp_ieee_invalid_op 0
		.amdhsa_exception_fp_denorm_src 0
		.amdhsa_exception_fp_ieee_div_zero 0
		.amdhsa_exception_fp_ieee_overflow 0
		.amdhsa_exception_fp_ieee_underflow 0
		.amdhsa_exception_fp_ieee_inexact 0
		.amdhsa_exception_int_div_zero 0
	.end_amdhsa_kernel
	.section	.text._Z25warp_store_guarded_kernelILj1024ELj4ELj1ELN7rocprim17ROCPRIM_304000_NS17warp_store_methodE3EaEvPT3_S4_i,"axG",@progbits,_Z25warp_store_guarded_kernelILj1024ELj4ELj1ELN7rocprim17ROCPRIM_304000_NS17warp_store_methodE3EaEvPT3_S4_i,comdat
.Lfunc_end56:
	.size	_Z25warp_store_guarded_kernelILj1024ELj4ELj1ELN7rocprim17ROCPRIM_304000_NS17warp_store_methodE3EaEvPT3_S4_i, .Lfunc_end56-_Z25warp_store_guarded_kernelILj1024ELj4ELj1ELN7rocprim17ROCPRIM_304000_NS17warp_store_methodE3EaEvPT3_S4_i
                                        ; -- End function
	.set _Z25warp_store_guarded_kernelILj1024ELj4ELj1ELN7rocprim17ROCPRIM_304000_NS17warp_store_methodE3EaEvPT3_S4_i.num_vgpr, 4
	.set _Z25warp_store_guarded_kernelILj1024ELj4ELj1ELN7rocprim17ROCPRIM_304000_NS17warp_store_methodE3EaEvPT3_S4_i.num_agpr, 0
	.set _Z25warp_store_guarded_kernelILj1024ELj4ELj1ELN7rocprim17ROCPRIM_304000_NS17warp_store_methodE3EaEvPT3_S4_i.numbered_sgpr, 12
	.set _Z25warp_store_guarded_kernelILj1024ELj4ELj1ELN7rocprim17ROCPRIM_304000_NS17warp_store_methodE3EaEvPT3_S4_i.num_named_barrier, 0
	.set _Z25warp_store_guarded_kernelILj1024ELj4ELj1ELN7rocprim17ROCPRIM_304000_NS17warp_store_methodE3EaEvPT3_S4_i.private_seg_size, 0
	.set _Z25warp_store_guarded_kernelILj1024ELj4ELj1ELN7rocprim17ROCPRIM_304000_NS17warp_store_methodE3EaEvPT3_S4_i.uses_vcc, 1
	.set _Z25warp_store_guarded_kernelILj1024ELj4ELj1ELN7rocprim17ROCPRIM_304000_NS17warp_store_methodE3EaEvPT3_S4_i.uses_flat_scratch, 0
	.set _Z25warp_store_guarded_kernelILj1024ELj4ELj1ELN7rocprim17ROCPRIM_304000_NS17warp_store_methodE3EaEvPT3_S4_i.has_dyn_sized_stack, 0
	.set _Z25warp_store_guarded_kernelILj1024ELj4ELj1ELN7rocprim17ROCPRIM_304000_NS17warp_store_methodE3EaEvPT3_S4_i.has_recursion, 0
	.set _Z25warp_store_guarded_kernelILj1024ELj4ELj1ELN7rocprim17ROCPRIM_304000_NS17warp_store_methodE3EaEvPT3_S4_i.has_indirect_call, 0
	.section	.AMDGPU.csdata,"",@progbits
; Kernel info:
; codeLenInByte = 196
; TotalNumSgprs: 16
; NumVgprs: 4
; ScratchSize: 0
; MemoryBound: 0
; FloatMode: 240
; IeeeMode: 1
; LDSByteSize: 4096 bytes/workgroup (compile time only)
; SGPRBlocks: 8
; VGPRBlocks: 7
; NumSGPRsForWavesPerEU: 65
; NumVGPRsForWavesPerEU: 29
; Occupancy: 8
; WaveLimiterHint : 0
; COMPUTE_PGM_RSRC2:SCRATCH_EN: 0
; COMPUTE_PGM_RSRC2:USER_SGPR: 6
; COMPUTE_PGM_RSRC2:TRAP_HANDLER: 0
; COMPUTE_PGM_RSRC2:TGID_X_EN: 1
; COMPUTE_PGM_RSRC2:TGID_Y_EN: 0
; COMPUTE_PGM_RSRC2:TGID_Z_EN: 0
; COMPUTE_PGM_RSRC2:TIDIG_COMP_CNT: 0
	.section	.text._Z25warp_store_guarded_kernelILj1024ELj4ELj1ELN7rocprim17ROCPRIM_304000_NS17warp_store_methodE2EaEvPT3_S4_i,"axG",@progbits,_Z25warp_store_guarded_kernelILj1024ELj4ELj1ELN7rocprim17ROCPRIM_304000_NS17warp_store_methodE2EaEvPT3_S4_i,comdat
	.protected	_Z25warp_store_guarded_kernelILj1024ELj4ELj1ELN7rocprim17ROCPRIM_304000_NS17warp_store_methodE2EaEvPT3_S4_i ; -- Begin function _Z25warp_store_guarded_kernelILj1024ELj4ELj1ELN7rocprim17ROCPRIM_304000_NS17warp_store_methodE2EaEvPT3_S4_i
	.globl	_Z25warp_store_guarded_kernelILj1024ELj4ELj1ELN7rocprim17ROCPRIM_304000_NS17warp_store_methodE2EaEvPT3_S4_i
	.p2align	8
	.type	_Z25warp_store_guarded_kernelILj1024ELj4ELj1ELN7rocprim17ROCPRIM_304000_NS17warp_store_methodE2EaEvPT3_S4_i,@function
_Z25warp_store_guarded_kernelILj1024ELj4ELj1ELN7rocprim17ROCPRIM_304000_NS17warp_store_methodE2EaEvPT3_S4_i: ; @_Z25warp_store_guarded_kernelILj1024ELj4ELj1ELN7rocprim17ROCPRIM_304000_NS17warp_store_methodE2EaEvPT3_S4_i
; %bb.0:
	s_load_dwordx4 s[0:3], s[4:5], 0x0
	s_load_dword s6, s[4:5], 0x10
	v_lshlrev_b32_e32 v3, 2, v0
	v_mov_b32_e32 v1, 8
	s_waitcnt lgkmcnt(0)
	global_load_ushort v0, v3, s[0:1] offset:1
	global_load_ubyte v2, v3, s[0:1] offset:3
	v_mov_b32_e32 v5, s3
	s_cmp_eq_u32 s6, 0
	s_waitcnt vmcnt(1)
	v_lshrrev_b32_sdwa v1, v1, v0 dst_sel:BYTE_1 dst_unused:UNUSED_PAD src0_sel:DWORD src1_sel:DWORD
	v_or_b32_sdwa v0, v0, v1 dst_sel:DWORD dst_unused:UNUSED_PAD src0_sel:BYTE_0 src1_sel:DWORD
	v_and_b32_e32 v4, 0xffff, v0
	v_add_co_u32_e32 v0, vcc, s2, v3
	v_addc_co_u32_e32 v1, vcc, 0, v5, vcc
	s_cbranch_scc1 .LBB57_2
; %bb.1:
	v_mov_b32_e32 v6, s1
	v_add_co_u32_e32 v5, vcc, s0, v3
	v_addc_co_u32_e32 v6, vcc, 0, v6, vcc
	global_load_ubyte v3, v[5:6], off
	s_waitcnt vmcnt(0)
	global_store_byte v[0:1], v3, off
.LBB57_2:
	s_cmp_lt_u32 s6, 2
	s_waitcnt vmcnt(0)
	v_lshl_or_b32 v2, v2, 16, v4
	s_cbranch_scc0 .LBB57_6
; %bb.3:
	s_cmp_lt_u32 s6, 3
	s_cbranch_scc0 .LBB57_7
.LBB57_4:
	s_cmp_lt_u32 s6, 4
	s_cbranch_scc0 .LBB57_8
.LBB57_5:
	s_endpgm
.LBB57_6:
	global_store_byte v[0:1], v2, off offset:1
	s_cmp_lt_u32 s6, 3
	s_cbranch_scc1 .LBB57_4
.LBB57_7:
	v_lshrrev_b32_e32 v3, 8, v2
	global_store_byte v[0:1], v3, off offset:2
	s_cmp_lt_u32 s6, 4
	s_cbranch_scc1 .LBB57_5
.LBB57_8:
	global_store_byte_d16_hi v[0:1], v2, off offset:3
	s_endpgm
	.section	.rodata,"a",@progbits
	.p2align	6, 0x0
	.amdhsa_kernel _Z25warp_store_guarded_kernelILj1024ELj4ELj1ELN7rocprim17ROCPRIM_304000_NS17warp_store_methodE2EaEvPT3_S4_i
		.amdhsa_group_segment_fixed_size 0
		.amdhsa_private_segment_fixed_size 0
		.amdhsa_kernarg_size 20
		.amdhsa_user_sgpr_count 6
		.amdhsa_user_sgpr_private_segment_buffer 1
		.amdhsa_user_sgpr_dispatch_ptr 0
		.amdhsa_user_sgpr_queue_ptr 0
		.amdhsa_user_sgpr_kernarg_segment_ptr 1
		.amdhsa_user_sgpr_dispatch_id 0
		.amdhsa_user_sgpr_flat_scratch_init 0
		.amdhsa_user_sgpr_private_segment_size 0
		.amdhsa_uses_dynamic_stack 0
		.amdhsa_system_sgpr_private_segment_wavefront_offset 0
		.amdhsa_system_sgpr_workgroup_id_x 1
		.amdhsa_system_sgpr_workgroup_id_y 0
		.amdhsa_system_sgpr_workgroup_id_z 0
		.amdhsa_system_sgpr_workgroup_info 0
		.amdhsa_system_vgpr_workitem_id 0
		.amdhsa_next_free_vgpr 7
		.amdhsa_next_free_sgpr 7
		.amdhsa_reserve_vcc 1
		.amdhsa_reserve_flat_scratch 0
		.amdhsa_float_round_mode_32 0
		.amdhsa_float_round_mode_16_64 0
		.amdhsa_float_denorm_mode_32 3
		.amdhsa_float_denorm_mode_16_64 3
		.amdhsa_dx10_clamp 1
		.amdhsa_ieee_mode 1
		.amdhsa_fp16_overflow 0
		.amdhsa_exception_fp_ieee_invalid_op 0
		.amdhsa_exception_fp_denorm_src 0
		.amdhsa_exception_fp_ieee_div_zero 0
		.amdhsa_exception_fp_ieee_overflow 0
		.amdhsa_exception_fp_ieee_underflow 0
		.amdhsa_exception_fp_ieee_inexact 0
		.amdhsa_exception_int_div_zero 0
	.end_amdhsa_kernel
	.section	.text._Z25warp_store_guarded_kernelILj1024ELj4ELj1ELN7rocprim17ROCPRIM_304000_NS17warp_store_methodE2EaEvPT3_S4_i,"axG",@progbits,_Z25warp_store_guarded_kernelILj1024ELj4ELj1ELN7rocprim17ROCPRIM_304000_NS17warp_store_methodE2EaEvPT3_S4_i,comdat
.Lfunc_end57:
	.size	_Z25warp_store_guarded_kernelILj1024ELj4ELj1ELN7rocprim17ROCPRIM_304000_NS17warp_store_methodE2EaEvPT3_S4_i, .Lfunc_end57-_Z25warp_store_guarded_kernelILj1024ELj4ELj1ELN7rocprim17ROCPRIM_304000_NS17warp_store_methodE2EaEvPT3_S4_i
                                        ; -- End function
	.set _Z25warp_store_guarded_kernelILj1024ELj4ELj1ELN7rocprim17ROCPRIM_304000_NS17warp_store_methodE2EaEvPT3_S4_i.num_vgpr, 7
	.set _Z25warp_store_guarded_kernelILj1024ELj4ELj1ELN7rocprim17ROCPRIM_304000_NS17warp_store_methodE2EaEvPT3_S4_i.num_agpr, 0
	.set _Z25warp_store_guarded_kernelILj1024ELj4ELj1ELN7rocprim17ROCPRIM_304000_NS17warp_store_methodE2EaEvPT3_S4_i.numbered_sgpr, 7
	.set _Z25warp_store_guarded_kernelILj1024ELj4ELj1ELN7rocprim17ROCPRIM_304000_NS17warp_store_methodE2EaEvPT3_S4_i.num_named_barrier, 0
	.set _Z25warp_store_guarded_kernelILj1024ELj4ELj1ELN7rocprim17ROCPRIM_304000_NS17warp_store_methodE2EaEvPT3_S4_i.private_seg_size, 0
	.set _Z25warp_store_guarded_kernelILj1024ELj4ELj1ELN7rocprim17ROCPRIM_304000_NS17warp_store_methodE2EaEvPT3_S4_i.uses_vcc, 1
	.set _Z25warp_store_guarded_kernelILj1024ELj4ELj1ELN7rocprim17ROCPRIM_304000_NS17warp_store_methodE2EaEvPT3_S4_i.uses_flat_scratch, 0
	.set _Z25warp_store_guarded_kernelILj1024ELj4ELj1ELN7rocprim17ROCPRIM_304000_NS17warp_store_methodE2EaEvPT3_S4_i.has_dyn_sized_stack, 0
	.set _Z25warp_store_guarded_kernelILj1024ELj4ELj1ELN7rocprim17ROCPRIM_304000_NS17warp_store_methodE2EaEvPT3_S4_i.has_recursion, 0
	.set _Z25warp_store_guarded_kernelILj1024ELj4ELj1ELN7rocprim17ROCPRIM_304000_NS17warp_store_methodE2EaEvPT3_S4_i.has_indirect_call, 0
	.section	.AMDGPU.csdata,"",@progbits
; Kernel info:
; codeLenInByte = 212
; TotalNumSgprs: 11
; NumVgprs: 7
; ScratchSize: 0
; MemoryBound: 0
; FloatMode: 240
; IeeeMode: 1
; LDSByteSize: 0 bytes/workgroup (compile time only)
; SGPRBlocks: 1
; VGPRBlocks: 1
; NumSGPRsForWavesPerEU: 11
; NumVGPRsForWavesPerEU: 7
; Occupancy: 10
; WaveLimiterHint : 0
; COMPUTE_PGM_RSRC2:SCRATCH_EN: 0
; COMPUTE_PGM_RSRC2:USER_SGPR: 6
; COMPUTE_PGM_RSRC2:TRAP_HANDLER: 0
; COMPUTE_PGM_RSRC2:TGID_X_EN: 1
; COMPUTE_PGM_RSRC2:TGID_Y_EN: 0
; COMPUTE_PGM_RSRC2:TGID_Z_EN: 0
; COMPUTE_PGM_RSRC2:TIDIG_COMP_CNT: 0
	.section	.text._Z25warp_store_guarded_kernelILj1024ELj4ELj1ELN7rocprim17ROCPRIM_304000_NS17warp_store_methodE1EaEvPT3_S4_i,"axG",@progbits,_Z25warp_store_guarded_kernelILj1024ELj4ELj1ELN7rocprim17ROCPRIM_304000_NS17warp_store_methodE1EaEvPT3_S4_i,comdat
	.protected	_Z25warp_store_guarded_kernelILj1024ELj4ELj1ELN7rocprim17ROCPRIM_304000_NS17warp_store_methodE1EaEvPT3_S4_i ; -- Begin function _Z25warp_store_guarded_kernelILj1024ELj4ELj1ELN7rocprim17ROCPRIM_304000_NS17warp_store_methodE1EaEvPT3_S4_i
	.globl	_Z25warp_store_guarded_kernelILj1024ELj4ELj1ELN7rocprim17ROCPRIM_304000_NS17warp_store_methodE1EaEvPT3_S4_i
	.p2align	8
	.type	_Z25warp_store_guarded_kernelILj1024ELj4ELj1ELN7rocprim17ROCPRIM_304000_NS17warp_store_methodE1EaEvPT3_S4_i,@function
_Z25warp_store_guarded_kernelILj1024ELj4ELj1ELN7rocprim17ROCPRIM_304000_NS17warp_store_methodE1EaEvPT3_S4_i: ; @_Z25warp_store_guarded_kernelILj1024ELj4ELj1ELN7rocprim17ROCPRIM_304000_NS17warp_store_methodE1EaEvPT3_S4_i
; %bb.0:
	s_load_dwordx4 s[0:3], s[4:5], 0x0
	s_load_dword s6, s[4:5], 0x10
	v_lshlrev_b32_e32 v3, 2, v0
	v_mov_b32_e32 v1, 8
	s_waitcnt lgkmcnt(0)
	global_load_ushort v0, v3, s[0:1] offset:1
	global_load_ubyte v2, v3, s[0:1] offset:3
	v_mov_b32_e32 v5, s3
	s_cmp_eq_u32 s6, 0
	s_waitcnt vmcnt(1)
	v_lshrrev_b32_sdwa v1, v1, v0 dst_sel:BYTE_1 dst_unused:UNUSED_PAD src0_sel:DWORD src1_sel:DWORD
	v_or_b32_sdwa v0, v0, v1 dst_sel:DWORD dst_unused:UNUSED_PAD src0_sel:BYTE_0 src1_sel:DWORD
	v_and_b32_e32 v4, 0xffff, v0
	v_add_co_u32_e32 v0, vcc, s2, v3
	v_addc_co_u32_e32 v1, vcc, 0, v5, vcc
	s_cbranch_scc1 .LBB58_2
; %bb.1:
	v_mov_b32_e32 v6, s1
	v_add_co_u32_e32 v5, vcc, s0, v3
	v_addc_co_u32_e32 v6, vcc, 0, v6, vcc
	global_load_ubyte v3, v[5:6], off
	s_waitcnt vmcnt(0)
	global_store_byte v[0:1], v3, off
.LBB58_2:
	s_cmp_lt_u32 s6, 2
	s_waitcnt vmcnt(0)
	v_lshl_or_b32 v2, v2, 16, v4
	s_cbranch_scc0 .LBB58_6
; %bb.3:
	s_cmp_lt_u32 s6, 3
	s_cbranch_scc0 .LBB58_7
.LBB58_4:
	s_cmp_lt_u32 s6, 4
	s_cbranch_scc0 .LBB58_8
.LBB58_5:
	s_endpgm
.LBB58_6:
	global_store_byte v[0:1], v2, off offset:1
	s_cmp_lt_u32 s6, 3
	s_cbranch_scc1 .LBB58_4
.LBB58_7:
	v_lshrrev_b32_e32 v3, 8, v2
	global_store_byte v[0:1], v3, off offset:2
	s_cmp_lt_u32 s6, 4
	s_cbranch_scc1 .LBB58_5
.LBB58_8:
	global_store_byte_d16_hi v[0:1], v2, off offset:3
	s_endpgm
	.section	.rodata,"a",@progbits
	.p2align	6, 0x0
	.amdhsa_kernel _Z25warp_store_guarded_kernelILj1024ELj4ELj1ELN7rocprim17ROCPRIM_304000_NS17warp_store_methodE1EaEvPT3_S4_i
		.amdhsa_group_segment_fixed_size 0
		.amdhsa_private_segment_fixed_size 0
		.amdhsa_kernarg_size 20
		.amdhsa_user_sgpr_count 6
		.amdhsa_user_sgpr_private_segment_buffer 1
		.amdhsa_user_sgpr_dispatch_ptr 0
		.amdhsa_user_sgpr_queue_ptr 0
		.amdhsa_user_sgpr_kernarg_segment_ptr 1
		.amdhsa_user_sgpr_dispatch_id 0
		.amdhsa_user_sgpr_flat_scratch_init 0
		.amdhsa_user_sgpr_private_segment_size 0
		.amdhsa_uses_dynamic_stack 0
		.amdhsa_system_sgpr_private_segment_wavefront_offset 0
		.amdhsa_system_sgpr_workgroup_id_x 1
		.amdhsa_system_sgpr_workgroup_id_y 0
		.amdhsa_system_sgpr_workgroup_id_z 0
		.amdhsa_system_sgpr_workgroup_info 0
		.amdhsa_system_vgpr_workitem_id 0
		.amdhsa_next_free_vgpr 7
		.amdhsa_next_free_sgpr 7
		.amdhsa_reserve_vcc 1
		.amdhsa_reserve_flat_scratch 0
		.amdhsa_float_round_mode_32 0
		.amdhsa_float_round_mode_16_64 0
		.amdhsa_float_denorm_mode_32 3
		.amdhsa_float_denorm_mode_16_64 3
		.amdhsa_dx10_clamp 1
		.amdhsa_ieee_mode 1
		.amdhsa_fp16_overflow 0
		.amdhsa_exception_fp_ieee_invalid_op 0
		.amdhsa_exception_fp_denorm_src 0
		.amdhsa_exception_fp_ieee_div_zero 0
		.amdhsa_exception_fp_ieee_overflow 0
		.amdhsa_exception_fp_ieee_underflow 0
		.amdhsa_exception_fp_ieee_inexact 0
		.amdhsa_exception_int_div_zero 0
	.end_amdhsa_kernel
	.section	.text._Z25warp_store_guarded_kernelILj1024ELj4ELj1ELN7rocprim17ROCPRIM_304000_NS17warp_store_methodE1EaEvPT3_S4_i,"axG",@progbits,_Z25warp_store_guarded_kernelILj1024ELj4ELj1ELN7rocprim17ROCPRIM_304000_NS17warp_store_methodE1EaEvPT3_S4_i,comdat
.Lfunc_end58:
	.size	_Z25warp_store_guarded_kernelILj1024ELj4ELj1ELN7rocprim17ROCPRIM_304000_NS17warp_store_methodE1EaEvPT3_S4_i, .Lfunc_end58-_Z25warp_store_guarded_kernelILj1024ELj4ELj1ELN7rocprim17ROCPRIM_304000_NS17warp_store_methodE1EaEvPT3_S4_i
                                        ; -- End function
	.set _Z25warp_store_guarded_kernelILj1024ELj4ELj1ELN7rocprim17ROCPRIM_304000_NS17warp_store_methodE1EaEvPT3_S4_i.num_vgpr, 7
	.set _Z25warp_store_guarded_kernelILj1024ELj4ELj1ELN7rocprim17ROCPRIM_304000_NS17warp_store_methodE1EaEvPT3_S4_i.num_agpr, 0
	.set _Z25warp_store_guarded_kernelILj1024ELj4ELj1ELN7rocprim17ROCPRIM_304000_NS17warp_store_methodE1EaEvPT3_S4_i.numbered_sgpr, 7
	.set _Z25warp_store_guarded_kernelILj1024ELj4ELj1ELN7rocprim17ROCPRIM_304000_NS17warp_store_methodE1EaEvPT3_S4_i.num_named_barrier, 0
	.set _Z25warp_store_guarded_kernelILj1024ELj4ELj1ELN7rocprim17ROCPRIM_304000_NS17warp_store_methodE1EaEvPT3_S4_i.private_seg_size, 0
	.set _Z25warp_store_guarded_kernelILj1024ELj4ELj1ELN7rocprim17ROCPRIM_304000_NS17warp_store_methodE1EaEvPT3_S4_i.uses_vcc, 1
	.set _Z25warp_store_guarded_kernelILj1024ELj4ELj1ELN7rocprim17ROCPRIM_304000_NS17warp_store_methodE1EaEvPT3_S4_i.uses_flat_scratch, 0
	.set _Z25warp_store_guarded_kernelILj1024ELj4ELj1ELN7rocprim17ROCPRIM_304000_NS17warp_store_methodE1EaEvPT3_S4_i.has_dyn_sized_stack, 0
	.set _Z25warp_store_guarded_kernelILj1024ELj4ELj1ELN7rocprim17ROCPRIM_304000_NS17warp_store_methodE1EaEvPT3_S4_i.has_recursion, 0
	.set _Z25warp_store_guarded_kernelILj1024ELj4ELj1ELN7rocprim17ROCPRIM_304000_NS17warp_store_methodE1EaEvPT3_S4_i.has_indirect_call, 0
	.section	.AMDGPU.csdata,"",@progbits
; Kernel info:
; codeLenInByte = 212
; TotalNumSgprs: 11
; NumVgprs: 7
; ScratchSize: 0
; MemoryBound: 0
; FloatMode: 240
; IeeeMode: 1
; LDSByteSize: 0 bytes/workgroup (compile time only)
; SGPRBlocks: 1
; VGPRBlocks: 1
; NumSGPRsForWavesPerEU: 11
; NumVGPRsForWavesPerEU: 7
; Occupancy: 10
; WaveLimiterHint : 0
; COMPUTE_PGM_RSRC2:SCRATCH_EN: 0
; COMPUTE_PGM_RSRC2:USER_SGPR: 6
; COMPUTE_PGM_RSRC2:TRAP_HANDLER: 0
; COMPUTE_PGM_RSRC2:TGID_X_EN: 1
; COMPUTE_PGM_RSRC2:TGID_Y_EN: 0
; COMPUTE_PGM_RSRC2:TGID_Z_EN: 0
; COMPUTE_PGM_RSRC2:TIDIG_COMP_CNT: 0
	.section	.text._Z25warp_store_guarded_kernelILj1024ELj4ELj1ELN7rocprim17ROCPRIM_304000_NS17warp_store_methodE0EaEvPT3_S4_i,"axG",@progbits,_Z25warp_store_guarded_kernelILj1024ELj4ELj1ELN7rocprim17ROCPRIM_304000_NS17warp_store_methodE0EaEvPT3_S4_i,comdat
	.protected	_Z25warp_store_guarded_kernelILj1024ELj4ELj1ELN7rocprim17ROCPRIM_304000_NS17warp_store_methodE0EaEvPT3_S4_i ; -- Begin function _Z25warp_store_guarded_kernelILj1024ELj4ELj1ELN7rocprim17ROCPRIM_304000_NS17warp_store_methodE0EaEvPT3_S4_i
	.globl	_Z25warp_store_guarded_kernelILj1024ELj4ELj1ELN7rocprim17ROCPRIM_304000_NS17warp_store_methodE0EaEvPT3_S4_i
	.p2align	8
	.type	_Z25warp_store_guarded_kernelILj1024ELj4ELj1ELN7rocprim17ROCPRIM_304000_NS17warp_store_methodE0EaEvPT3_S4_i,@function
_Z25warp_store_guarded_kernelILj1024ELj4ELj1ELN7rocprim17ROCPRIM_304000_NS17warp_store_methodE0EaEvPT3_S4_i: ; @_Z25warp_store_guarded_kernelILj1024ELj4ELj1ELN7rocprim17ROCPRIM_304000_NS17warp_store_methodE0EaEvPT3_S4_i
; %bb.0:
	s_load_dwordx4 s[0:3], s[4:5], 0x0
	s_load_dword s6, s[4:5], 0x10
	v_lshlrev_b32_e32 v3, 2, v0
	v_mov_b32_e32 v1, 8
	s_waitcnt lgkmcnt(0)
	global_load_ushort v0, v3, s[0:1] offset:1
	global_load_ubyte v2, v3, s[0:1] offset:3
	v_mov_b32_e32 v5, s3
	s_cmp_eq_u32 s6, 0
	s_waitcnt vmcnt(1)
	v_lshrrev_b32_sdwa v1, v1, v0 dst_sel:BYTE_1 dst_unused:UNUSED_PAD src0_sel:DWORD src1_sel:DWORD
	v_or_b32_sdwa v0, v0, v1 dst_sel:DWORD dst_unused:UNUSED_PAD src0_sel:BYTE_0 src1_sel:DWORD
	v_and_b32_e32 v4, 0xffff, v0
	v_add_co_u32_e32 v0, vcc, s2, v3
	v_addc_co_u32_e32 v1, vcc, 0, v5, vcc
	s_cbranch_scc1 .LBB59_2
; %bb.1:
	v_mov_b32_e32 v6, s1
	v_add_co_u32_e32 v5, vcc, s0, v3
	v_addc_co_u32_e32 v6, vcc, 0, v6, vcc
	global_load_ubyte v3, v[5:6], off
	s_waitcnt vmcnt(0)
	global_store_byte v[0:1], v3, off
.LBB59_2:
	s_cmp_lt_u32 s6, 2
	s_waitcnt vmcnt(0)
	v_lshl_or_b32 v2, v2, 16, v4
	s_cbranch_scc0 .LBB59_6
; %bb.3:
	s_cmp_lt_u32 s6, 3
	s_cbranch_scc0 .LBB59_7
.LBB59_4:
	s_cmp_lt_u32 s6, 4
	s_cbranch_scc0 .LBB59_8
.LBB59_5:
	s_endpgm
.LBB59_6:
	global_store_byte v[0:1], v2, off offset:1
	s_cmp_lt_u32 s6, 3
	s_cbranch_scc1 .LBB59_4
.LBB59_7:
	v_lshrrev_b32_e32 v3, 8, v2
	global_store_byte v[0:1], v3, off offset:2
	s_cmp_lt_u32 s6, 4
	s_cbranch_scc1 .LBB59_5
.LBB59_8:
	global_store_byte_d16_hi v[0:1], v2, off offset:3
	s_endpgm
	.section	.rodata,"a",@progbits
	.p2align	6, 0x0
	.amdhsa_kernel _Z25warp_store_guarded_kernelILj1024ELj4ELj1ELN7rocprim17ROCPRIM_304000_NS17warp_store_methodE0EaEvPT3_S4_i
		.amdhsa_group_segment_fixed_size 0
		.amdhsa_private_segment_fixed_size 0
		.amdhsa_kernarg_size 20
		.amdhsa_user_sgpr_count 6
		.amdhsa_user_sgpr_private_segment_buffer 1
		.amdhsa_user_sgpr_dispatch_ptr 0
		.amdhsa_user_sgpr_queue_ptr 0
		.amdhsa_user_sgpr_kernarg_segment_ptr 1
		.amdhsa_user_sgpr_dispatch_id 0
		.amdhsa_user_sgpr_flat_scratch_init 0
		.amdhsa_user_sgpr_private_segment_size 0
		.amdhsa_uses_dynamic_stack 0
		.amdhsa_system_sgpr_private_segment_wavefront_offset 0
		.amdhsa_system_sgpr_workgroup_id_x 1
		.amdhsa_system_sgpr_workgroup_id_y 0
		.amdhsa_system_sgpr_workgroup_id_z 0
		.amdhsa_system_sgpr_workgroup_info 0
		.amdhsa_system_vgpr_workitem_id 0
		.amdhsa_next_free_vgpr 7
		.amdhsa_next_free_sgpr 7
		.amdhsa_reserve_vcc 1
		.amdhsa_reserve_flat_scratch 0
		.amdhsa_float_round_mode_32 0
		.amdhsa_float_round_mode_16_64 0
		.amdhsa_float_denorm_mode_32 3
		.amdhsa_float_denorm_mode_16_64 3
		.amdhsa_dx10_clamp 1
		.amdhsa_ieee_mode 1
		.amdhsa_fp16_overflow 0
		.amdhsa_exception_fp_ieee_invalid_op 0
		.amdhsa_exception_fp_denorm_src 0
		.amdhsa_exception_fp_ieee_div_zero 0
		.amdhsa_exception_fp_ieee_overflow 0
		.amdhsa_exception_fp_ieee_underflow 0
		.amdhsa_exception_fp_ieee_inexact 0
		.amdhsa_exception_int_div_zero 0
	.end_amdhsa_kernel
	.section	.text._Z25warp_store_guarded_kernelILj1024ELj4ELj1ELN7rocprim17ROCPRIM_304000_NS17warp_store_methodE0EaEvPT3_S4_i,"axG",@progbits,_Z25warp_store_guarded_kernelILj1024ELj4ELj1ELN7rocprim17ROCPRIM_304000_NS17warp_store_methodE0EaEvPT3_S4_i,comdat
.Lfunc_end59:
	.size	_Z25warp_store_guarded_kernelILj1024ELj4ELj1ELN7rocprim17ROCPRIM_304000_NS17warp_store_methodE0EaEvPT3_S4_i, .Lfunc_end59-_Z25warp_store_guarded_kernelILj1024ELj4ELj1ELN7rocprim17ROCPRIM_304000_NS17warp_store_methodE0EaEvPT3_S4_i
                                        ; -- End function
	.set _Z25warp_store_guarded_kernelILj1024ELj4ELj1ELN7rocprim17ROCPRIM_304000_NS17warp_store_methodE0EaEvPT3_S4_i.num_vgpr, 7
	.set _Z25warp_store_guarded_kernelILj1024ELj4ELj1ELN7rocprim17ROCPRIM_304000_NS17warp_store_methodE0EaEvPT3_S4_i.num_agpr, 0
	.set _Z25warp_store_guarded_kernelILj1024ELj4ELj1ELN7rocprim17ROCPRIM_304000_NS17warp_store_methodE0EaEvPT3_S4_i.numbered_sgpr, 7
	.set _Z25warp_store_guarded_kernelILj1024ELj4ELj1ELN7rocprim17ROCPRIM_304000_NS17warp_store_methodE0EaEvPT3_S4_i.num_named_barrier, 0
	.set _Z25warp_store_guarded_kernelILj1024ELj4ELj1ELN7rocprim17ROCPRIM_304000_NS17warp_store_methodE0EaEvPT3_S4_i.private_seg_size, 0
	.set _Z25warp_store_guarded_kernelILj1024ELj4ELj1ELN7rocprim17ROCPRIM_304000_NS17warp_store_methodE0EaEvPT3_S4_i.uses_vcc, 1
	.set _Z25warp_store_guarded_kernelILj1024ELj4ELj1ELN7rocprim17ROCPRIM_304000_NS17warp_store_methodE0EaEvPT3_S4_i.uses_flat_scratch, 0
	.set _Z25warp_store_guarded_kernelILj1024ELj4ELj1ELN7rocprim17ROCPRIM_304000_NS17warp_store_methodE0EaEvPT3_S4_i.has_dyn_sized_stack, 0
	.set _Z25warp_store_guarded_kernelILj1024ELj4ELj1ELN7rocprim17ROCPRIM_304000_NS17warp_store_methodE0EaEvPT3_S4_i.has_recursion, 0
	.set _Z25warp_store_guarded_kernelILj1024ELj4ELj1ELN7rocprim17ROCPRIM_304000_NS17warp_store_methodE0EaEvPT3_S4_i.has_indirect_call, 0
	.section	.AMDGPU.csdata,"",@progbits
; Kernel info:
; codeLenInByte = 212
; TotalNumSgprs: 11
; NumVgprs: 7
; ScratchSize: 0
; MemoryBound: 0
; FloatMode: 240
; IeeeMode: 1
; LDSByteSize: 0 bytes/workgroup (compile time only)
; SGPRBlocks: 1
; VGPRBlocks: 1
; NumSGPRsForWavesPerEU: 11
; NumVGPRsForWavesPerEU: 7
; Occupancy: 10
; WaveLimiterHint : 0
; COMPUTE_PGM_RSRC2:SCRATCH_EN: 0
; COMPUTE_PGM_RSRC2:USER_SGPR: 6
; COMPUTE_PGM_RSRC2:TRAP_HANDLER: 0
; COMPUTE_PGM_RSRC2:TGID_X_EN: 1
; COMPUTE_PGM_RSRC2:TGID_Y_EN: 0
; COMPUTE_PGM_RSRC2:TGID_Z_EN: 0
; COMPUTE_PGM_RSRC2:TIDIG_COMP_CNT: 0
	.section	.text._Z25warp_store_guarded_kernelILj1024ELj4ELj32ELN7rocprim17ROCPRIM_304000_NS17warp_store_methodE3E15HIP_vector_typeIfLj2EEEvPT3_S6_i,"axG",@progbits,_Z25warp_store_guarded_kernelILj1024ELj4ELj32ELN7rocprim17ROCPRIM_304000_NS17warp_store_methodE3E15HIP_vector_typeIfLj2EEEvPT3_S6_i,comdat
	.protected	_Z25warp_store_guarded_kernelILj1024ELj4ELj32ELN7rocprim17ROCPRIM_304000_NS17warp_store_methodE3E15HIP_vector_typeIfLj2EEEvPT3_S6_i ; -- Begin function _Z25warp_store_guarded_kernelILj1024ELj4ELj32ELN7rocprim17ROCPRIM_304000_NS17warp_store_methodE3E15HIP_vector_typeIfLj2EEEvPT3_S6_i
	.globl	_Z25warp_store_guarded_kernelILj1024ELj4ELj32ELN7rocprim17ROCPRIM_304000_NS17warp_store_methodE3E15HIP_vector_typeIfLj2EEEvPT3_S6_i
	.p2align	8
	.type	_Z25warp_store_guarded_kernelILj1024ELj4ELj32ELN7rocprim17ROCPRIM_304000_NS17warp_store_methodE3E15HIP_vector_typeIfLj2EEEvPT3_S6_i,@function
_Z25warp_store_guarded_kernelILj1024ELj4ELj32ELN7rocprim17ROCPRIM_304000_NS17warp_store_methodE3E15HIP_vector_typeIfLj2EEEvPT3_S6_i: ; @_Z25warp_store_guarded_kernelILj1024ELj4ELj32ELN7rocprim17ROCPRIM_304000_NS17warp_store_methodE3E15HIP_vector_typeIfLj2EEEvPT3_S6_i
; %bb.0:
	s_load_dwordx4 s[8:11], s[4:5], 0x0
	s_load_dword s2, s[4:5], 0x10
	v_lshlrev_b32_e32 v8, 5, v0
	v_mbcnt_lo_u32_b32 v9, -1, 0
	v_mbcnt_hi_u32_b32 v9, -1, v9
	s_waitcnt lgkmcnt(0)
	global_load_dwordx4 v[0:3], v8, s[8:9]
	global_load_dwordx4 v[4:7], v8, s[8:9] offset:16
	v_and_b32_e32 v10, 0x7c00, v8
	v_and_b32_e32 v8, 31, v9
	s_movk_i32 s0, 0xffe8
	v_lshl_or_b32 v9, v8, 5, v10
	v_mad_i32_i24 v12, v8, s0, v9
	v_mov_b32_e32 v13, s11
	v_add_co_u32_e32 v10, vcc, s10, v10
	v_lshlrev_b32_e32 v11, 3, v8
	v_addc_co_u32_e32 v13, vcc, 0, v13, vcc
	s_waitcnt vmcnt(1)
	ds_write_b128 v9, v[0:3]
	s_waitcnt vmcnt(0)
	ds_write_b128 v9, v[4:7] offset:16
	; wave barrier
	ds_read2_b64 v[0:3], v12 offset0:32 offset1:64
	ds_read_b64 v[4:5], v12 offset:768
	v_add_co_u32_e32 v6, vcc, v10, v11
	v_addc_co_u32_e32 v7, vcc, 0, v13, vcc
	v_cmp_gt_u32_e32 vcc, s2, v8
	s_and_saveexec_b64 s[0:1], vcc
	s_cbranch_execz .LBB60_2
; %bb.1:
	v_mul_i32_i24_e32 v10, 0xffffffe8, v8
	v_add_u32_e32 v9, v9, v10
	ds_read_b64 v[9:10], v9
	s_waitcnt lgkmcnt(0)
	global_store_dwordx2 v[6:7], v[9:10], off
.LBB60_2:
	s_or_b64 exec, exec, s[0:1]
	v_or_b32_e32 v9, 32, v8
	v_cmp_gt_u32_e32 vcc, s2, v9
	s_and_saveexec_b64 s[0:1], vcc
	s_cbranch_execz .LBB60_4
; %bb.3:
	s_waitcnt lgkmcnt(1)
	global_store_dwordx2 v[6:7], v[0:1], off offset:256
.LBB60_4:
	s_or_b64 exec, exec, s[0:1]
	s_waitcnt lgkmcnt(1)
	v_or_b32_e32 v0, 64, v8
	v_cmp_gt_u32_e32 vcc, s2, v0
	s_and_saveexec_b64 s[0:1], vcc
	s_cbranch_execz .LBB60_6
; %bb.5:
	global_store_dwordx2 v[6:7], v[2:3], off offset:512
.LBB60_6:
	s_or_b64 exec, exec, s[0:1]
	v_or_b32_e32 v0, 0x60, v8
	v_cmp_gt_u32_e32 vcc, s2, v0
	s_and_saveexec_b64 s[0:1], vcc
	s_cbranch_execz .LBB60_8
; %bb.7:
	s_waitcnt lgkmcnt(0)
	global_store_dwordx2 v[6:7], v[4:5], off offset:768
.LBB60_8:
	s_endpgm
	.section	.rodata,"a",@progbits
	.p2align	6, 0x0
	.amdhsa_kernel _Z25warp_store_guarded_kernelILj1024ELj4ELj32ELN7rocprim17ROCPRIM_304000_NS17warp_store_methodE3E15HIP_vector_typeIfLj2EEEvPT3_S6_i
		.amdhsa_group_segment_fixed_size 32768
		.amdhsa_private_segment_fixed_size 0
		.amdhsa_kernarg_size 20
		.amdhsa_user_sgpr_count 6
		.amdhsa_user_sgpr_private_segment_buffer 1
		.amdhsa_user_sgpr_dispatch_ptr 0
		.amdhsa_user_sgpr_queue_ptr 0
		.amdhsa_user_sgpr_kernarg_segment_ptr 1
		.amdhsa_user_sgpr_dispatch_id 0
		.amdhsa_user_sgpr_flat_scratch_init 0
		.amdhsa_user_sgpr_private_segment_size 0
		.amdhsa_uses_dynamic_stack 0
		.amdhsa_system_sgpr_private_segment_wavefront_offset 0
		.amdhsa_system_sgpr_workgroup_id_x 1
		.amdhsa_system_sgpr_workgroup_id_y 0
		.amdhsa_system_sgpr_workgroup_id_z 0
		.amdhsa_system_sgpr_workgroup_info 0
		.amdhsa_system_vgpr_workitem_id 0
		.amdhsa_next_free_vgpr 29
		.amdhsa_next_free_sgpr 61
		.amdhsa_reserve_vcc 1
		.amdhsa_reserve_flat_scratch 0
		.amdhsa_float_round_mode_32 0
		.amdhsa_float_round_mode_16_64 0
		.amdhsa_float_denorm_mode_32 3
		.amdhsa_float_denorm_mode_16_64 3
		.amdhsa_dx10_clamp 1
		.amdhsa_ieee_mode 1
		.amdhsa_fp16_overflow 0
		.amdhsa_exception_fp_ieee_invalid_op 0
		.amdhsa_exception_fp_denorm_src 0
		.amdhsa_exception_fp_ieee_div_zero 0
		.amdhsa_exception_fp_ieee_overflow 0
		.amdhsa_exception_fp_ieee_underflow 0
		.amdhsa_exception_fp_ieee_inexact 0
		.amdhsa_exception_int_div_zero 0
	.end_amdhsa_kernel
	.section	.text._Z25warp_store_guarded_kernelILj1024ELj4ELj32ELN7rocprim17ROCPRIM_304000_NS17warp_store_methodE3E15HIP_vector_typeIfLj2EEEvPT3_S6_i,"axG",@progbits,_Z25warp_store_guarded_kernelILj1024ELj4ELj32ELN7rocprim17ROCPRIM_304000_NS17warp_store_methodE3E15HIP_vector_typeIfLj2EEEvPT3_S6_i,comdat
.Lfunc_end60:
	.size	_Z25warp_store_guarded_kernelILj1024ELj4ELj32ELN7rocprim17ROCPRIM_304000_NS17warp_store_methodE3E15HIP_vector_typeIfLj2EEEvPT3_S6_i, .Lfunc_end60-_Z25warp_store_guarded_kernelILj1024ELj4ELj32ELN7rocprim17ROCPRIM_304000_NS17warp_store_methodE3E15HIP_vector_typeIfLj2EEEvPT3_S6_i
                                        ; -- End function
	.set _Z25warp_store_guarded_kernelILj1024ELj4ELj32ELN7rocprim17ROCPRIM_304000_NS17warp_store_methodE3E15HIP_vector_typeIfLj2EEEvPT3_S6_i.num_vgpr, 14
	.set _Z25warp_store_guarded_kernelILj1024ELj4ELj32ELN7rocprim17ROCPRIM_304000_NS17warp_store_methodE3E15HIP_vector_typeIfLj2EEEvPT3_S6_i.num_agpr, 0
	.set _Z25warp_store_guarded_kernelILj1024ELj4ELj32ELN7rocprim17ROCPRIM_304000_NS17warp_store_methodE3E15HIP_vector_typeIfLj2EEEvPT3_S6_i.numbered_sgpr, 12
	.set _Z25warp_store_guarded_kernelILj1024ELj4ELj32ELN7rocprim17ROCPRIM_304000_NS17warp_store_methodE3E15HIP_vector_typeIfLj2EEEvPT3_S6_i.num_named_barrier, 0
	.set _Z25warp_store_guarded_kernelILj1024ELj4ELj32ELN7rocprim17ROCPRIM_304000_NS17warp_store_methodE3E15HIP_vector_typeIfLj2EEEvPT3_S6_i.private_seg_size, 0
	.set _Z25warp_store_guarded_kernelILj1024ELj4ELj32ELN7rocprim17ROCPRIM_304000_NS17warp_store_methodE3E15HIP_vector_typeIfLj2EEEvPT3_S6_i.uses_vcc, 1
	.set _Z25warp_store_guarded_kernelILj1024ELj4ELj32ELN7rocprim17ROCPRIM_304000_NS17warp_store_methodE3E15HIP_vector_typeIfLj2EEEvPT3_S6_i.uses_flat_scratch, 0
	.set _Z25warp_store_guarded_kernelILj1024ELj4ELj32ELN7rocprim17ROCPRIM_304000_NS17warp_store_methodE3E15HIP_vector_typeIfLj2EEEvPT3_S6_i.has_dyn_sized_stack, 0
	.set _Z25warp_store_guarded_kernelILj1024ELj4ELj32ELN7rocprim17ROCPRIM_304000_NS17warp_store_methodE3E15HIP_vector_typeIfLj2EEEvPT3_S6_i.has_recursion, 0
	.set _Z25warp_store_guarded_kernelILj1024ELj4ELj32ELN7rocprim17ROCPRIM_304000_NS17warp_store_methodE3E15HIP_vector_typeIfLj2EEEvPT3_S6_i.has_indirect_call, 0
	.section	.AMDGPU.csdata,"",@progbits
; Kernel info:
; codeLenInByte = 300
; TotalNumSgprs: 16
; NumVgprs: 14
; ScratchSize: 0
; MemoryBound: 0
; FloatMode: 240
; IeeeMode: 1
; LDSByteSize: 32768 bytes/workgroup (compile time only)
; SGPRBlocks: 8
; VGPRBlocks: 7
; NumSGPRsForWavesPerEU: 65
; NumVGPRsForWavesPerEU: 29
; Occupancy: 8
; WaveLimiterHint : 0
; COMPUTE_PGM_RSRC2:SCRATCH_EN: 0
; COMPUTE_PGM_RSRC2:USER_SGPR: 6
; COMPUTE_PGM_RSRC2:TRAP_HANDLER: 0
; COMPUTE_PGM_RSRC2:TGID_X_EN: 1
; COMPUTE_PGM_RSRC2:TGID_Y_EN: 0
; COMPUTE_PGM_RSRC2:TGID_Z_EN: 0
; COMPUTE_PGM_RSRC2:TIDIG_COMP_CNT: 0
	.section	.text._Z25warp_store_guarded_kernelILj1024ELj4ELj32ELN7rocprim17ROCPRIM_304000_NS17warp_store_methodE2E15HIP_vector_typeIfLj2EEEvPT3_S6_i,"axG",@progbits,_Z25warp_store_guarded_kernelILj1024ELj4ELj32ELN7rocprim17ROCPRIM_304000_NS17warp_store_methodE2E15HIP_vector_typeIfLj2EEEvPT3_S6_i,comdat
	.protected	_Z25warp_store_guarded_kernelILj1024ELj4ELj32ELN7rocprim17ROCPRIM_304000_NS17warp_store_methodE2E15HIP_vector_typeIfLj2EEEvPT3_S6_i ; -- Begin function _Z25warp_store_guarded_kernelILj1024ELj4ELj32ELN7rocprim17ROCPRIM_304000_NS17warp_store_methodE2E15HIP_vector_typeIfLj2EEEvPT3_S6_i
	.globl	_Z25warp_store_guarded_kernelILj1024ELj4ELj32ELN7rocprim17ROCPRIM_304000_NS17warp_store_methodE2E15HIP_vector_typeIfLj2EEEvPT3_S6_i
	.p2align	8
	.type	_Z25warp_store_guarded_kernelILj1024ELj4ELj32ELN7rocprim17ROCPRIM_304000_NS17warp_store_methodE2E15HIP_vector_typeIfLj2EEEvPT3_S6_i,@function
_Z25warp_store_guarded_kernelILj1024ELj4ELj32ELN7rocprim17ROCPRIM_304000_NS17warp_store_methodE2E15HIP_vector_typeIfLj2EEEvPT3_S6_i: ; @_Z25warp_store_guarded_kernelILj1024ELj4ELj32ELN7rocprim17ROCPRIM_304000_NS17warp_store_methodE2E15HIP_vector_typeIfLj2EEEvPT3_S6_i
; %bb.0:
	s_load_dwordx4 s[0:3], s[4:5], 0x0
	s_load_dword s6, s[4:5], 0x10
	v_lshlrev_b32_e32 v9, 5, v0
	v_mbcnt_lo_u32_b32 v8, -1, 0
	v_mbcnt_hi_u32_b32 v8, -1, v8
	s_waitcnt lgkmcnt(0)
	global_load_dwordx2 v[4:5], v9, s[0:1] offset:24
	global_load_dwordx4 v[0:3], v9, s[0:1] offset:8
	v_and_b32_e32 v6, 0x7c00, v9
	v_lshlrev_b32_e32 v8, 2, v8
	v_mov_b32_e32 v7, s3
	v_add_co_u32_e32 v6, vcc, s2, v6
	v_and_b32_e32 v8, 0x7c, v8
	v_addc_co_u32_e32 v7, vcc, 0, v7, vcc
	v_lshlrev_b32_e32 v10, 3, v8
	v_add_co_u32_e32 v6, vcc, v6, v10
	v_addc_co_u32_e32 v7, vcc, 0, v7, vcc
	v_cmp_gt_u32_e32 vcc, s6, v8
	s_and_saveexec_b64 s[2:3], vcc
	s_cbranch_execz .LBB61_2
; %bb.1:
	v_mov_b32_e32 v10, s1
	v_add_co_u32_e32 v9, vcc, s0, v9
	v_addc_co_u32_e32 v10, vcc, 0, v10, vcc
	global_load_dwordx2 v[9:10], v[9:10], off
	s_waitcnt vmcnt(0)
	global_store_dwordx2 v[6:7], v[9:10], off
.LBB61_2:
	s_or_b64 exec, exec, s[2:3]
	v_or_b32_e32 v9, 1, v8
	v_cmp_gt_u32_e32 vcc, s6, v9
	s_and_saveexec_b64 s[0:1], vcc
	s_cbranch_execz .LBB61_4
; %bb.3:
	s_waitcnt vmcnt(0)
	global_store_dwordx2 v[6:7], v[0:1], off offset:8
.LBB61_4:
	s_or_b64 exec, exec, s[0:1]
	s_waitcnt vmcnt(0)
	v_or_b32_e32 v0, 2, v8
	v_cmp_gt_u32_e32 vcc, s6, v0
	s_and_saveexec_b64 s[0:1], vcc
	s_cbranch_execz .LBB61_6
; %bb.5:
	global_store_dwordx2 v[6:7], v[2:3], off offset:16
.LBB61_6:
	s_or_b64 exec, exec, s[0:1]
	v_or_b32_e32 v0, 3, v8
	v_cmp_gt_u32_e32 vcc, s6, v0
	s_and_saveexec_b64 s[0:1], vcc
	s_cbranch_execz .LBB61_8
; %bb.7:
	global_store_dwordx2 v[6:7], v[4:5], off offset:24
.LBB61_8:
	s_endpgm
	.section	.rodata,"a",@progbits
	.p2align	6, 0x0
	.amdhsa_kernel _Z25warp_store_guarded_kernelILj1024ELj4ELj32ELN7rocprim17ROCPRIM_304000_NS17warp_store_methodE2E15HIP_vector_typeIfLj2EEEvPT3_S6_i
		.amdhsa_group_segment_fixed_size 0
		.amdhsa_private_segment_fixed_size 0
		.amdhsa_kernarg_size 20
		.amdhsa_user_sgpr_count 6
		.amdhsa_user_sgpr_private_segment_buffer 1
		.amdhsa_user_sgpr_dispatch_ptr 0
		.amdhsa_user_sgpr_queue_ptr 0
		.amdhsa_user_sgpr_kernarg_segment_ptr 1
		.amdhsa_user_sgpr_dispatch_id 0
		.amdhsa_user_sgpr_flat_scratch_init 0
		.amdhsa_user_sgpr_private_segment_size 0
		.amdhsa_uses_dynamic_stack 0
		.amdhsa_system_sgpr_private_segment_wavefront_offset 0
		.amdhsa_system_sgpr_workgroup_id_x 1
		.amdhsa_system_sgpr_workgroup_id_y 0
		.amdhsa_system_sgpr_workgroup_id_z 0
		.amdhsa_system_sgpr_workgroup_info 0
		.amdhsa_system_vgpr_workitem_id 0
		.amdhsa_next_free_vgpr 11
		.amdhsa_next_free_sgpr 7
		.amdhsa_reserve_vcc 1
		.amdhsa_reserve_flat_scratch 0
		.amdhsa_float_round_mode_32 0
		.amdhsa_float_round_mode_16_64 0
		.amdhsa_float_denorm_mode_32 3
		.amdhsa_float_denorm_mode_16_64 3
		.amdhsa_dx10_clamp 1
		.amdhsa_ieee_mode 1
		.amdhsa_fp16_overflow 0
		.amdhsa_exception_fp_ieee_invalid_op 0
		.amdhsa_exception_fp_denorm_src 0
		.amdhsa_exception_fp_ieee_div_zero 0
		.amdhsa_exception_fp_ieee_overflow 0
		.amdhsa_exception_fp_ieee_underflow 0
		.amdhsa_exception_fp_ieee_inexact 0
		.amdhsa_exception_int_div_zero 0
	.end_amdhsa_kernel
	.section	.text._Z25warp_store_guarded_kernelILj1024ELj4ELj32ELN7rocprim17ROCPRIM_304000_NS17warp_store_methodE2E15HIP_vector_typeIfLj2EEEvPT3_S6_i,"axG",@progbits,_Z25warp_store_guarded_kernelILj1024ELj4ELj32ELN7rocprim17ROCPRIM_304000_NS17warp_store_methodE2E15HIP_vector_typeIfLj2EEEvPT3_S6_i,comdat
.Lfunc_end61:
	.size	_Z25warp_store_guarded_kernelILj1024ELj4ELj32ELN7rocprim17ROCPRIM_304000_NS17warp_store_methodE2E15HIP_vector_typeIfLj2EEEvPT3_S6_i, .Lfunc_end61-_Z25warp_store_guarded_kernelILj1024ELj4ELj32ELN7rocprim17ROCPRIM_304000_NS17warp_store_methodE2E15HIP_vector_typeIfLj2EEEvPT3_S6_i
                                        ; -- End function
	.set _Z25warp_store_guarded_kernelILj1024ELj4ELj32ELN7rocprim17ROCPRIM_304000_NS17warp_store_methodE2E15HIP_vector_typeIfLj2EEEvPT3_S6_i.num_vgpr, 11
	.set _Z25warp_store_guarded_kernelILj1024ELj4ELj32ELN7rocprim17ROCPRIM_304000_NS17warp_store_methodE2E15HIP_vector_typeIfLj2EEEvPT3_S6_i.num_agpr, 0
	.set _Z25warp_store_guarded_kernelILj1024ELj4ELj32ELN7rocprim17ROCPRIM_304000_NS17warp_store_methodE2E15HIP_vector_typeIfLj2EEEvPT3_S6_i.numbered_sgpr, 7
	.set _Z25warp_store_guarded_kernelILj1024ELj4ELj32ELN7rocprim17ROCPRIM_304000_NS17warp_store_methodE2E15HIP_vector_typeIfLj2EEEvPT3_S6_i.num_named_barrier, 0
	.set _Z25warp_store_guarded_kernelILj1024ELj4ELj32ELN7rocprim17ROCPRIM_304000_NS17warp_store_methodE2E15HIP_vector_typeIfLj2EEEvPT3_S6_i.private_seg_size, 0
	.set _Z25warp_store_guarded_kernelILj1024ELj4ELj32ELN7rocprim17ROCPRIM_304000_NS17warp_store_methodE2E15HIP_vector_typeIfLj2EEEvPT3_S6_i.uses_vcc, 1
	.set _Z25warp_store_guarded_kernelILj1024ELj4ELj32ELN7rocprim17ROCPRIM_304000_NS17warp_store_methodE2E15HIP_vector_typeIfLj2EEEvPT3_S6_i.uses_flat_scratch, 0
	.set _Z25warp_store_guarded_kernelILj1024ELj4ELj32ELN7rocprim17ROCPRIM_304000_NS17warp_store_methodE2E15HIP_vector_typeIfLj2EEEvPT3_S6_i.has_dyn_sized_stack, 0
	.set _Z25warp_store_guarded_kernelILj1024ELj4ELj32ELN7rocprim17ROCPRIM_304000_NS17warp_store_methodE2E15HIP_vector_typeIfLj2EEEvPT3_S6_i.has_recursion, 0
	.set _Z25warp_store_guarded_kernelILj1024ELj4ELj32ELN7rocprim17ROCPRIM_304000_NS17warp_store_methodE2E15HIP_vector_typeIfLj2EEEvPT3_S6_i.has_indirect_call, 0
	.section	.AMDGPU.csdata,"",@progbits
; Kernel info:
; codeLenInByte = 240
; TotalNumSgprs: 11
; NumVgprs: 11
; ScratchSize: 0
; MemoryBound: 1
; FloatMode: 240
; IeeeMode: 1
; LDSByteSize: 0 bytes/workgroup (compile time only)
; SGPRBlocks: 1
; VGPRBlocks: 2
; NumSGPRsForWavesPerEU: 11
; NumVGPRsForWavesPerEU: 11
; Occupancy: 10
; WaveLimiterHint : 0
; COMPUTE_PGM_RSRC2:SCRATCH_EN: 0
; COMPUTE_PGM_RSRC2:USER_SGPR: 6
; COMPUTE_PGM_RSRC2:TRAP_HANDLER: 0
; COMPUTE_PGM_RSRC2:TGID_X_EN: 1
; COMPUTE_PGM_RSRC2:TGID_Y_EN: 0
; COMPUTE_PGM_RSRC2:TGID_Z_EN: 0
; COMPUTE_PGM_RSRC2:TIDIG_COMP_CNT: 0
	.section	.text._Z25warp_store_guarded_kernelILj1024ELj4ELj32ELN7rocprim17ROCPRIM_304000_NS17warp_store_methodE1E15HIP_vector_typeIfLj2EEEvPT3_S6_i,"axG",@progbits,_Z25warp_store_guarded_kernelILj1024ELj4ELj32ELN7rocprim17ROCPRIM_304000_NS17warp_store_methodE1E15HIP_vector_typeIfLj2EEEvPT3_S6_i,comdat
	.protected	_Z25warp_store_guarded_kernelILj1024ELj4ELj32ELN7rocprim17ROCPRIM_304000_NS17warp_store_methodE1E15HIP_vector_typeIfLj2EEEvPT3_S6_i ; -- Begin function _Z25warp_store_guarded_kernelILj1024ELj4ELj32ELN7rocprim17ROCPRIM_304000_NS17warp_store_methodE1E15HIP_vector_typeIfLj2EEEvPT3_S6_i
	.globl	_Z25warp_store_guarded_kernelILj1024ELj4ELj32ELN7rocprim17ROCPRIM_304000_NS17warp_store_methodE1E15HIP_vector_typeIfLj2EEEvPT3_S6_i
	.p2align	8
	.type	_Z25warp_store_guarded_kernelILj1024ELj4ELj32ELN7rocprim17ROCPRIM_304000_NS17warp_store_methodE1E15HIP_vector_typeIfLj2EEEvPT3_S6_i,@function
_Z25warp_store_guarded_kernelILj1024ELj4ELj32ELN7rocprim17ROCPRIM_304000_NS17warp_store_methodE1E15HIP_vector_typeIfLj2EEEvPT3_S6_i: ; @_Z25warp_store_guarded_kernelILj1024ELj4ELj32ELN7rocprim17ROCPRIM_304000_NS17warp_store_methodE1E15HIP_vector_typeIfLj2EEEvPT3_S6_i
; %bb.0:
	s_load_dwordx4 s[0:3], s[4:5], 0x0
	s_load_dword s6, s[4:5], 0x10
	v_lshlrev_b32_e32 v9, 5, v0
	v_mbcnt_lo_u32_b32 v8, -1, 0
	v_and_b32_e32 v6, 0x7c00, v9
	s_waitcnt lgkmcnt(0)
	global_load_dwordx2 v[4:5], v9, s[0:1] offset:24
	global_load_dwordx4 v[0:3], v9, s[0:1] offset:8
	v_mbcnt_hi_u32_b32 v8, -1, v8
	v_mov_b32_e32 v7, s3
	v_add_co_u32_e32 v6, vcc, s2, v6
	v_and_b32_e32 v8, 31, v8
	v_addc_co_u32_e32 v7, vcc, 0, v7, vcc
	v_lshlrev_b32_e32 v10, 3, v8
	v_add_co_u32_e32 v6, vcc, v6, v10
	v_addc_co_u32_e32 v7, vcc, 0, v7, vcc
	v_cmp_gt_u32_e32 vcc, s6, v8
	s_and_saveexec_b64 s[2:3], vcc
	s_cbranch_execz .LBB62_2
; %bb.1:
	v_mov_b32_e32 v10, s1
	v_add_co_u32_e32 v9, vcc, s0, v9
	v_addc_co_u32_e32 v10, vcc, 0, v10, vcc
	global_load_dwordx2 v[9:10], v[9:10], off
	s_waitcnt vmcnt(0)
	global_store_dwordx2 v[6:7], v[9:10], off
.LBB62_2:
	s_or_b64 exec, exec, s[2:3]
	v_or_b32_e32 v9, 32, v8
	v_cmp_gt_u32_e32 vcc, s6, v9
	s_and_saveexec_b64 s[0:1], vcc
	s_cbranch_execz .LBB62_4
; %bb.3:
	s_waitcnt vmcnt(0)
	global_store_dwordx2 v[6:7], v[0:1], off offset:256
.LBB62_4:
	s_or_b64 exec, exec, s[0:1]
	s_waitcnt vmcnt(0)
	v_or_b32_e32 v0, 64, v8
	v_cmp_gt_u32_e32 vcc, s6, v0
	s_and_saveexec_b64 s[0:1], vcc
	s_cbranch_execz .LBB62_6
; %bb.5:
	global_store_dwordx2 v[6:7], v[2:3], off offset:512
.LBB62_6:
	s_or_b64 exec, exec, s[0:1]
	v_or_b32_e32 v0, 0x60, v8
	v_cmp_gt_u32_e32 vcc, s6, v0
	s_and_saveexec_b64 s[0:1], vcc
	s_cbranch_execz .LBB62_8
; %bb.7:
	global_store_dwordx2 v[6:7], v[4:5], off offset:768
.LBB62_8:
	s_endpgm
	.section	.rodata,"a",@progbits
	.p2align	6, 0x0
	.amdhsa_kernel _Z25warp_store_guarded_kernelILj1024ELj4ELj32ELN7rocprim17ROCPRIM_304000_NS17warp_store_methodE1E15HIP_vector_typeIfLj2EEEvPT3_S6_i
		.amdhsa_group_segment_fixed_size 0
		.amdhsa_private_segment_fixed_size 0
		.amdhsa_kernarg_size 20
		.amdhsa_user_sgpr_count 6
		.amdhsa_user_sgpr_private_segment_buffer 1
		.amdhsa_user_sgpr_dispatch_ptr 0
		.amdhsa_user_sgpr_queue_ptr 0
		.amdhsa_user_sgpr_kernarg_segment_ptr 1
		.amdhsa_user_sgpr_dispatch_id 0
		.amdhsa_user_sgpr_flat_scratch_init 0
		.amdhsa_user_sgpr_private_segment_size 0
		.amdhsa_uses_dynamic_stack 0
		.amdhsa_system_sgpr_private_segment_wavefront_offset 0
		.amdhsa_system_sgpr_workgroup_id_x 1
		.amdhsa_system_sgpr_workgroup_id_y 0
		.amdhsa_system_sgpr_workgroup_id_z 0
		.amdhsa_system_sgpr_workgroup_info 0
		.amdhsa_system_vgpr_workitem_id 0
		.amdhsa_next_free_vgpr 11
		.amdhsa_next_free_sgpr 7
		.amdhsa_reserve_vcc 1
		.amdhsa_reserve_flat_scratch 0
		.amdhsa_float_round_mode_32 0
		.amdhsa_float_round_mode_16_64 0
		.amdhsa_float_denorm_mode_32 3
		.amdhsa_float_denorm_mode_16_64 3
		.amdhsa_dx10_clamp 1
		.amdhsa_ieee_mode 1
		.amdhsa_fp16_overflow 0
		.amdhsa_exception_fp_ieee_invalid_op 0
		.amdhsa_exception_fp_denorm_src 0
		.amdhsa_exception_fp_ieee_div_zero 0
		.amdhsa_exception_fp_ieee_overflow 0
		.amdhsa_exception_fp_ieee_underflow 0
		.amdhsa_exception_fp_ieee_inexact 0
		.amdhsa_exception_int_div_zero 0
	.end_amdhsa_kernel
	.section	.text._Z25warp_store_guarded_kernelILj1024ELj4ELj32ELN7rocprim17ROCPRIM_304000_NS17warp_store_methodE1E15HIP_vector_typeIfLj2EEEvPT3_S6_i,"axG",@progbits,_Z25warp_store_guarded_kernelILj1024ELj4ELj32ELN7rocprim17ROCPRIM_304000_NS17warp_store_methodE1E15HIP_vector_typeIfLj2EEEvPT3_S6_i,comdat
.Lfunc_end62:
	.size	_Z25warp_store_guarded_kernelILj1024ELj4ELj32ELN7rocprim17ROCPRIM_304000_NS17warp_store_methodE1E15HIP_vector_typeIfLj2EEEvPT3_S6_i, .Lfunc_end62-_Z25warp_store_guarded_kernelILj1024ELj4ELj32ELN7rocprim17ROCPRIM_304000_NS17warp_store_methodE1E15HIP_vector_typeIfLj2EEEvPT3_S6_i
                                        ; -- End function
	.set _Z25warp_store_guarded_kernelILj1024ELj4ELj32ELN7rocprim17ROCPRIM_304000_NS17warp_store_methodE1E15HIP_vector_typeIfLj2EEEvPT3_S6_i.num_vgpr, 11
	.set _Z25warp_store_guarded_kernelILj1024ELj4ELj32ELN7rocprim17ROCPRIM_304000_NS17warp_store_methodE1E15HIP_vector_typeIfLj2EEEvPT3_S6_i.num_agpr, 0
	.set _Z25warp_store_guarded_kernelILj1024ELj4ELj32ELN7rocprim17ROCPRIM_304000_NS17warp_store_methodE1E15HIP_vector_typeIfLj2EEEvPT3_S6_i.numbered_sgpr, 7
	.set _Z25warp_store_guarded_kernelILj1024ELj4ELj32ELN7rocprim17ROCPRIM_304000_NS17warp_store_methodE1E15HIP_vector_typeIfLj2EEEvPT3_S6_i.num_named_barrier, 0
	.set _Z25warp_store_guarded_kernelILj1024ELj4ELj32ELN7rocprim17ROCPRIM_304000_NS17warp_store_methodE1E15HIP_vector_typeIfLj2EEEvPT3_S6_i.private_seg_size, 0
	.set _Z25warp_store_guarded_kernelILj1024ELj4ELj32ELN7rocprim17ROCPRIM_304000_NS17warp_store_methodE1E15HIP_vector_typeIfLj2EEEvPT3_S6_i.uses_vcc, 1
	.set _Z25warp_store_guarded_kernelILj1024ELj4ELj32ELN7rocprim17ROCPRIM_304000_NS17warp_store_methodE1E15HIP_vector_typeIfLj2EEEvPT3_S6_i.uses_flat_scratch, 0
	.set _Z25warp_store_guarded_kernelILj1024ELj4ELj32ELN7rocprim17ROCPRIM_304000_NS17warp_store_methodE1E15HIP_vector_typeIfLj2EEEvPT3_S6_i.has_dyn_sized_stack, 0
	.set _Z25warp_store_guarded_kernelILj1024ELj4ELj32ELN7rocprim17ROCPRIM_304000_NS17warp_store_methodE1E15HIP_vector_typeIfLj2EEEvPT3_S6_i.has_recursion, 0
	.set _Z25warp_store_guarded_kernelILj1024ELj4ELj32ELN7rocprim17ROCPRIM_304000_NS17warp_store_methodE1E15HIP_vector_typeIfLj2EEEvPT3_S6_i.has_indirect_call, 0
	.section	.AMDGPU.csdata,"",@progbits
; Kernel info:
; codeLenInByte = 236
; TotalNumSgprs: 11
; NumVgprs: 11
; ScratchSize: 0
; MemoryBound: 1
; FloatMode: 240
; IeeeMode: 1
; LDSByteSize: 0 bytes/workgroup (compile time only)
; SGPRBlocks: 1
; VGPRBlocks: 2
; NumSGPRsForWavesPerEU: 11
; NumVGPRsForWavesPerEU: 11
; Occupancy: 10
; WaveLimiterHint : 0
; COMPUTE_PGM_RSRC2:SCRATCH_EN: 0
; COMPUTE_PGM_RSRC2:USER_SGPR: 6
; COMPUTE_PGM_RSRC2:TRAP_HANDLER: 0
; COMPUTE_PGM_RSRC2:TGID_X_EN: 1
; COMPUTE_PGM_RSRC2:TGID_Y_EN: 0
; COMPUTE_PGM_RSRC2:TGID_Z_EN: 0
; COMPUTE_PGM_RSRC2:TIDIG_COMP_CNT: 0
	.section	.text._Z25warp_store_guarded_kernelILj1024ELj4ELj32ELN7rocprim17ROCPRIM_304000_NS17warp_store_methodE0E15HIP_vector_typeIfLj2EEEvPT3_S6_i,"axG",@progbits,_Z25warp_store_guarded_kernelILj1024ELj4ELj32ELN7rocprim17ROCPRIM_304000_NS17warp_store_methodE0E15HIP_vector_typeIfLj2EEEvPT3_S6_i,comdat
	.protected	_Z25warp_store_guarded_kernelILj1024ELj4ELj32ELN7rocprim17ROCPRIM_304000_NS17warp_store_methodE0E15HIP_vector_typeIfLj2EEEvPT3_S6_i ; -- Begin function _Z25warp_store_guarded_kernelILj1024ELj4ELj32ELN7rocprim17ROCPRIM_304000_NS17warp_store_methodE0E15HIP_vector_typeIfLj2EEEvPT3_S6_i
	.globl	_Z25warp_store_guarded_kernelILj1024ELj4ELj32ELN7rocprim17ROCPRIM_304000_NS17warp_store_methodE0E15HIP_vector_typeIfLj2EEEvPT3_S6_i
	.p2align	8
	.type	_Z25warp_store_guarded_kernelILj1024ELj4ELj32ELN7rocprim17ROCPRIM_304000_NS17warp_store_methodE0E15HIP_vector_typeIfLj2EEEvPT3_S6_i,@function
_Z25warp_store_guarded_kernelILj1024ELj4ELj32ELN7rocprim17ROCPRIM_304000_NS17warp_store_methodE0E15HIP_vector_typeIfLj2EEEvPT3_S6_i: ; @_Z25warp_store_guarded_kernelILj1024ELj4ELj32ELN7rocprim17ROCPRIM_304000_NS17warp_store_methodE0E15HIP_vector_typeIfLj2EEEvPT3_S6_i
; %bb.0:
	s_load_dwordx4 s[0:3], s[4:5], 0x0
	s_load_dword s6, s[4:5], 0x10
	v_lshlrev_b32_e32 v9, 5, v0
	v_mbcnt_lo_u32_b32 v8, -1, 0
	v_mbcnt_hi_u32_b32 v8, -1, v8
	s_waitcnt lgkmcnt(0)
	global_load_dwordx2 v[4:5], v9, s[0:1] offset:24
	global_load_dwordx4 v[0:3], v9, s[0:1] offset:8
	v_and_b32_e32 v6, 0x7c00, v9
	v_lshlrev_b32_e32 v8, 2, v8
	v_mov_b32_e32 v7, s3
	v_add_co_u32_e32 v6, vcc, s2, v6
	v_and_b32_e32 v8, 0x7c, v8
	v_addc_co_u32_e32 v7, vcc, 0, v7, vcc
	v_lshlrev_b32_e32 v10, 3, v8
	v_add_co_u32_e32 v6, vcc, v6, v10
	v_addc_co_u32_e32 v7, vcc, 0, v7, vcc
	v_cmp_gt_u32_e32 vcc, s6, v8
	s_and_saveexec_b64 s[2:3], vcc
	s_cbranch_execz .LBB63_2
; %bb.1:
	v_mov_b32_e32 v10, s1
	v_add_co_u32_e32 v9, vcc, s0, v9
	v_addc_co_u32_e32 v10, vcc, 0, v10, vcc
	global_load_dwordx2 v[9:10], v[9:10], off
	s_waitcnt vmcnt(0)
	global_store_dwordx2 v[6:7], v[9:10], off
.LBB63_2:
	s_or_b64 exec, exec, s[2:3]
	v_or_b32_e32 v9, 1, v8
	v_cmp_gt_u32_e32 vcc, s6, v9
	s_and_saveexec_b64 s[0:1], vcc
	s_cbranch_execz .LBB63_4
; %bb.3:
	s_waitcnt vmcnt(0)
	global_store_dwordx2 v[6:7], v[0:1], off offset:8
.LBB63_4:
	s_or_b64 exec, exec, s[0:1]
	s_waitcnt vmcnt(0)
	v_or_b32_e32 v0, 2, v8
	v_cmp_gt_u32_e32 vcc, s6, v0
	s_and_saveexec_b64 s[0:1], vcc
	s_cbranch_execz .LBB63_6
; %bb.5:
	global_store_dwordx2 v[6:7], v[2:3], off offset:16
.LBB63_6:
	s_or_b64 exec, exec, s[0:1]
	v_or_b32_e32 v0, 3, v8
	v_cmp_gt_u32_e32 vcc, s6, v0
	s_and_saveexec_b64 s[0:1], vcc
	s_cbranch_execz .LBB63_8
; %bb.7:
	global_store_dwordx2 v[6:7], v[4:5], off offset:24
.LBB63_8:
	s_endpgm
	.section	.rodata,"a",@progbits
	.p2align	6, 0x0
	.amdhsa_kernel _Z25warp_store_guarded_kernelILj1024ELj4ELj32ELN7rocprim17ROCPRIM_304000_NS17warp_store_methodE0E15HIP_vector_typeIfLj2EEEvPT3_S6_i
		.amdhsa_group_segment_fixed_size 0
		.amdhsa_private_segment_fixed_size 0
		.amdhsa_kernarg_size 20
		.amdhsa_user_sgpr_count 6
		.amdhsa_user_sgpr_private_segment_buffer 1
		.amdhsa_user_sgpr_dispatch_ptr 0
		.amdhsa_user_sgpr_queue_ptr 0
		.amdhsa_user_sgpr_kernarg_segment_ptr 1
		.amdhsa_user_sgpr_dispatch_id 0
		.amdhsa_user_sgpr_flat_scratch_init 0
		.amdhsa_user_sgpr_private_segment_size 0
		.amdhsa_uses_dynamic_stack 0
		.amdhsa_system_sgpr_private_segment_wavefront_offset 0
		.amdhsa_system_sgpr_workgroup_id_x 1
		.amdhsa_system_sgpr_workgroup_id_y 0
		.amdhsa_system_sgpr_workgroup_id_z 0
		.amdhsa_system_sgpr_workgroup_info 0
		.amdhsa_system_vgpr_workitem_id 0
		.amdhsa_next_free_vgpr 11
		.amdhsa_next_free_sgpr 7
		.amdhsa_reserve_vcc 1
		.amdhsa_reserve_flat_scratch 0
		.amdhsa_float_round_mode_32 0
		.amdhsa_float_round_mode_16_64 0
		.amdhsa_float_denorm_mode_32 3
		.amdhsa_float_denorm_mode_16_64 3
		.amdhsa_dx10_clamp 1
		.amdhsa_ieee_mode 1
		.amdhsa_fp16_overflow 0
		.amdhsa_exception_fp_ieee_invalid_op 0
		.amdhsa_exception_fp_denorm_src 0
		.amdhsa_exception_fp_ieee_div_zero 0
		.amdhsa_exception_fp_ieee_overflow 0
		.amdhsa_exception_fp_ieee_underflow 0
		.amdhsa_exception_fp_ieee_inexact 0
		.amdhsa_exception_int_div_zero 0
	.end_amdhsa_kernel
	.section	.text._Z25warp_store_guarded_kernelILj1024ELj4ELj32ELN7rocprim17ROCPRIM_304000_NS17warp_store_methodE0E15HIP_vector_typeIfLj2EEEvPT3_S6_i,"axG",@progbits,_Z25warp_store_guarded_kernelILj1024ELj4ELj32ELN7rocprim17ROCPRIM_304000_NS17warp_store_methodE0E15HIP_vector_typeIfLj2EEEvPT3_S6_i,comdat
.Lfunc_end63:
	.size	_Z25warp_store_guarded_kernelILj1024ELj4ELj32ELN7rocprim17ROCPRIM_304000_NS17warp_store_methodE0E15HIP_vector_typeIfLj2EEEvPT3_S6_i, .Lfunc_end63-_Z25warp_store_guarded_kernelILj1024ELj4ELj32ELN7rocprim17ROCPRIM_304000_NS17warp_store_methodE0E15HIP_vector_typeIfLj2EEEvPT3_S6_i
                                        ; -- End function
	.set _Z25warp_store_guarded_kernelILj1024ELj4ELj32ELN7rocprim17ROCPRIM_304000_NS17warp_store_methodE0E15HIP_vector_typeIfLj2EEEvPT3_S6_i.num_vgpr, 11
	.set _Z25warp_store_guarded_kernelILj1024ELj4ELj32ELN7rocprim17ROCPRIM_304000_NS17warp_store_methodE0E15HIP_vector_typeIfLj2EEEvPT3_S6_i.num_agpr, 0
	.set _Z25warp_store_guarded_kernelILj1024ELj4ELj32ELN7rocprim17ROCPRIM_304000_NS17warp_store_methodE0E15HIP_vector_typeIfLj2EEEvPT3_S6_i.numbered_sgpr, 7
	.set _Z25warp_store_guarded_kernelILj1024ELj4ELj32ELN7rocprim17ROCPRIM_304000_NS17warp_store_methodE0E15HIP_vector_typeIfLj2EEEvPT3_S6_i.num_named_barrier, 0
	.set _Z25warp_store_guarded_kernelILj1024ELj4ELj32ELN7rocprim17ROCPRIM_304000_NS17warp_store_methodE0E15HIP_vector_typeIfLj2EEEvPT3_S6_i.private_seg_size, 0
	.set _Z25warp_store_guarded_kernelILj1024ELj4ELj32ELN7rocprim17ROCPRIM_304000_NS17warp_store_methodE0E15HIP_vector_typeIfLj2EEEvPT3_S6_i.uses_vcc, 1
	.set _Z25warp_store_guarded_kernelILj1024ELj4ELj32ELN7rocprim17ROCPRIM_304000_NS17warp_store_methodE0E15HIP_vector_typeIfLj2EEEvPT3_S6_i.uses_flat_scratch, 0
	.set _Z25warp_store_guarded_kernelILj1024ELj4ELj32ELN7rocprim17ROCPRIM_304000_NS17warp_store_methodE0E15HIP_vector_typeIfLj2EEEvPT3_S6_i.has_dyn_sized_stack, 0
	.set _Z25warp_store_guarded_kernelILj1024ELj4ELj32ELN7rocprim17ROCPRIM_304000_NS17warp_store_methodE0E15HIP_vector_typeIfLj2EEEvPT3_S6_i.has_recursion, 0
	.set _Z25warp_store_guarded_kernelILj1024ELj4ELj32ELN7rocprim17ROCPRIM_304000_NS17warp_store_methodE0E15HIP_vector_typeIfLj2EEEvPT3_S6_i.has_indirect_call, 0
	.section	.AMDGPU.csdata,"",@progbits
; Kernel info:
; codeLenInByte = 240
; TotalNumSgprs: 11
; NumVgprs: 11
; ScratchSize: 0
; MemoryBound: 1
; FloatMode: 240
; IeeeMode: 1
; LDSByteSize: 0 bytes/workgroup (compile time only)
; SGPRBlocks: 1
; VGPRBlocks: 2
; NumSGPRsForWavesPerEU: 11
; NumVGPRsForWavesPerEU: 11
; Occupancy: 10
; WaveLimiterHint : 0
; COMPUTE_PGM_RSRC2:SCRATCH_EN: 0
; COMPUTE_PGM_RSRC2:USER_SGPR: 6
; COMPUTE_PGM_RSRC2:TRAP_HANDLER: 0
; COMPUTE_PGM_RSRC2:TGID_X_EN: 1
; COMPUTE_PGM_RSRC2:TGID_Y_EN: 0
; COMPUTE_PGM_RSRC2:TGID_Z_EN: 0
; COMPUTE_PGM_RSRC2:TIDIG_COMP_CNT: 0
	.section	.text._Z25warp_store_guarded_kernelILj1024ELj4ELj64ELN7rocprim17ROCPRIM_304000_NS17warp_store_methodE3EiEvPT3_S4_i,"axG",@progbits,_Z25warp_store_guarded_kernelILj1024ELj4ELj64ELN7rocprim17ROCPRIM_304000_NS17warp_store_methodE3EiEvPT3_S4_i,comdat
	.protected	_Z25warp_store_guarded_kernelILj1024ELj4ELj64ELN7rocprim17ROCPRIM_304000_NS17warp_store_methodE3EiEvPT3_S4_i ; -- Begin function _Z25warp_store_guarded_kernelILj1024ELj4ELj64ELN7rocprim17ROCPRIM_304000_NS17warp_store_methodE3EiEvPT3_S4_i
	.globl	_Z25warp_store_guarded_kernelILj1024ELj4ELj64ELN7rocprim17ROCPRIM_304000_NS17warp_store_methodE3EiEvPT3_S4_i
	.p2align	8
	.type	_Z25warp_store_guarded_kernelILj1024ELj4ELj64ELN7rocprim17ROCPRIM_304000_NS17warp_store_methodE3EiEvPT3_S4_i,@function
_Z25warp_store_guarded_kernelILj1024ELj4ELj64ELN7rocprim17ROCPRIM_304000_NS17warp_store_methodE3EiEvPT3_S4_i: ; @_Z25warp_store_guarded_kernelILj1024ELj4ELj64ELN7rocprim17ROCPRIM_304000_NS17warp_store_methodE3EiEvPT3_S4_i
; %bb.0:
	s_load_dwordx4 s[8:11], s[4:5], 0x0
	s_load_dword s2, s[4:5], 0x10
	v_lshlrev_b32_e32 v4, 4, v0
	v_mbcnt_lo_u32_b32 v5, -1, 0
	v_mbcnt_hi_u32_b32 v5, -1, v5
	s_waitcnt lgkmcnt(0)
	global_load_dwordx4 v[0:3], v4, s[8:9]
	v_and_b32_e32 v4, 0x3c00, v4
	v_lshlrev_b32_e32 v7, 2, v5
	v_lshl_add_u32 v8, v5, 4, v4
	v_or_b32_e32 v6, v4, v7
	v_mov_b32_e32 v11, s11
	v_add_co_u32_e32 v4, vcc, s10, v4
	v_addc_co_u32_e32 v11, vcc, 0, v11, vcc
	v_and_b32_e32 v9, 0x100, v7
	v_add_co_u32_e32 v7, vcc, v4, v7
	v_lshlrev_b32_e32 v10, 2, v9
	v_addc_co_u32_e32 v11, vcc, 0, v11, vcc
	v_or_b32_e32 v5, v9, v5
	s_waitcnt vmcnt(0)
	ds_write_b128 v8, v[0:3]
	; wave barrier
	ds_read2st64_b32 v[2:3], v6 offset0:1 offset1:2
	ds_read_b32 v4, v6 offset:768
	v_add_co_u32_e32 v0, vcc, v7, v10
	v_addc_co_u32_e32 v1, vcc, 0, v11, vcc
	v_cmp_gt_u32_e32 vcc, s2, v5
	s_and_saveexec_b64 s[0:1], vcc
	s_cbranch_execz .LBB64_2
; %bb.1:
	ds_read_b32 v6, v6
	s_waitcnt lgkmcnt(0)
	global_store_dword v[0:1], v6, off
.LBB64_2:
	s_or_b64 exec, exec, s[0:1]
	v_add_u32_e32 v6, 64, v5
	v_cmp_gt_u32_e32 vcc, s2, v6
	s_and_saveexec_b64 s[0:1], vcc
	s_cbranch_execz .LBB64_4
; %bb.3:
	s_waitcnt lgkmcnt(1)
	global_store_dword v[0:1], v2, off offset:256
.LBB64_4:
	s_or_b64 exec, exec, s[0:1]
	s_waitcnt lgkmcnt(1)
	v_add_u32_e32 v2, 0x80, v5
	v_cmp_gt_u32_e32 vcc, s2, v2
	s_and_saveexec_b64 s[0:1], vcc
	s_cbranch_execz .LBB64_6
; %bb.5:
	global_store_dword v[0:1], v3, off offset:512
.LBB64_6:
	s_or_b64 exec, exec, s[0:1]
	v_add_u32_e32 v2, 0xc0, v5
	v_cmp_gt_u32_e32 vcc, s2, v2
	s_and_saveexec_b64 s[0:1], vcc
	s_cbranch_execz .LBB64_8
; %bb.7:
	s_waitcnt lgkmcnt(0)
	global_store_dword v[0:1], v4, off offset:768
.LBB64_8:
	s_endpgm
	.section	.rodata,"a",@progbits
	.p2align	6, 0x0
	.amdhsa_kernel _Z25warp_store_guarded_kernelILj1024ELj4ELj64ELN7rocprim17ROCPRIM_304000_NS17warp_store_methodE3EiEvPT3_S4_i
		.amdhsa_group_segment_fixed_size 16384
		.amdhsa_private_segment_fixed_size 0
		.amdhsa_kernarg_size 20
		.amdhsa_user_sgpr_count 6
		.amdhsa_user_sgpr_private_segment_buffer 1
		.amdhsa_user_sgpr_dispatch_ptr 0
		.amdhsa_user_sgpr_queue_ptr 0
		.amdhsa_user_sgpr_kernarg_segment_ptr 1
		.amdhsa_user_sgpr_dispatch_id 0
		.amdhsa_user_sgpr_flat_scratch_init 0
		.amdhsa_user_sgpr_private_segment_size 0
		.amdhsa_uses_dynamic_stack 0
		.amdhsa_system_sgpr_private_segment_wavefront_offset 0
		.amdhsa_system_sgpr_workgroup_id_x 1
		.amdhsa_system_sgpr_workgroup_id_y 0
		.amdhsa_system_sgpr_workgroup_id_z 0
		.amdhsa_system_sgpr_workgroup_info 0
		.amdhsa_system_vgpr_workitem_id 0
		.amdhsa_next_free_vgpr 29
		.amdhsa_next_free_sgpr 61
		.amdhsa_reserve_vcc 1
		.amdhsa_reserve_flat_scratch 0
		.amdhsa_float_round_mode_32 0
		.amdhsa_float_round_mode_16_64 0
		.amdhsa_float_denorm_mode_32 3
		.amdhsa_float_denorm_mode_16_64 3
		.amdhsa_dx10_clamp 1
		.amdhsa_ieee_mode 1
		.amdhsa_fp16_overflow 0
		.amdhsa_exception_fp_ieee_invalid_op 0
		.amdhsa_exception_fp_denorm_src 0
		.amdhsa_exception_fp_ieee_div_zero 0
		.amdhsa_exception_fp_ieee_overflow 0
		.amdhsa_exception_fp_ieee_underflow 0
		.amdhsa_exception_fp_ieee_inexact 0
		.amdhsa_exception_int_div_zero 0
	.end_amdhsa_kernel
	.section	.text._Z25warp_store_guarded_kernelILj1024ELj4ELj64ELN7rocprim17ROCPRIM_304000_NS17warp_store_methodE3EiEvPT3_S4_i,"axG",@progbits,_Z25warp_store_guarded_kernelILj1024ELj4ELj64ELN7rocprim17ROCPRIM_304000_NS17warp_store_methodE3EiEvPT3_S4_i,comdat
.Lfunc_end64:
	.size	_Z25warp_store_guarded_kernelILj1024ELj4ELj64ELN7rocprim17ROCPRIM_304000_NS17warp_store_methodE3EiEvPT3_S4_i, .Lfunc_end64-_Z25warp_store_guarded_kernelILj1024ELj4ELj64ELN7rocprim17ROCPRIM_304000_NS17warp_store_methodE3EiEvPT3_S4_i
                                        ; -- End function
	.set _Z25warp_store_guarded_kernelILj1024ELj4ELj64ELN7rocprim17ROCPRIM_304000_NS17warp_store_methodE3EiEvPT3_S4_i.num_vgpr, 12
	.set _Z25warp_store_guarded_kernelILj1024ELj4ELj64ELN7rocprim17ROCPRIM_304000_NS17warp_store_methodE3EiEvPT3_S4_i.num_agpr, 0
	.set _Z25warp_store_guarded_kernelILj1024ELj4ELj64ELN7rocprim17ROCPRIM_304000_NS17warp_store_methodE3EiEvPT3_S4_i.numbered_sgpr, 12
	.set _Z25warp_store_guarded_kernelILj1024ELj4ELj64ELN7rocprim17ROCPRIM_304000_NS17warp_store_methodE3EiEvPT3_S4_i.num_named_barrier, 0
	.set _Z25warp_store_guarded_kernelILj1024ELj4ELj64ELN7rocprim17ROCPRIM_304000_NS17warp_store_methodE3EiEvPT3_S4_i.private_seg_size, 0
	.set _Z25warp_store_guarded_kernelILj1024ELj4ELj64ELN7rocprim17ROCPRIM_304000_NS17warp_store_methodE3EiEvPT3_S4_i.uses_vcc, 1
	.set _Z25warp_store_guarded_kernelILj1024ELj4ELj64ELN7rocprim17ROCPRIM_304000_NS17warp_store_methodE3EiEvPT3_S4_i.uses_flat_scratch, 0
	.set _Z25warp_store_guarded_kernelILj1024ELj4ELj64ELN7rocprim17ROCPRIM_304000_NS17warp_store_methodE3EiEvPT3_S4_i.has_dyn_sized_stack, 0
	.set _Z25warp_store_guarded_kernelILj1024ELj4ELj64ELN7rocprim17ROCPRIM_304000_NS17warp_store_methodE3EiEvPT3_S4_i.has_recursion, 0
	.set _Z25warp_store_guarded_kernelILj1024ELj4ELj64ELN7rocprim17ROCPRIM_304000_NS17warp_store_methodE3EiEvPT3_S4_i.has_indirect_call, 0
	.section	.AMDGPU.csdata,"",@progbits
; Kernel info:
; codeLenInByte = 284
; TotalNumSgprs: 16
; NumVgprs: 12
; ScratchSize: 0
; MemoryBound: 0
; FloatMode: 240
; IeeeMode: 1
; LDSByteSize: 16384 bytes/workgroup (compile time only)
; SGPRBlocks: 8
; VGPRBlocks: 7
; NumSGPRsForWavesPerEU: 65
; NumVGPRsForWavesPerEU: 29
; Occupancy: 8
; WaveLimiterHint : 0
; COMPUTE_PGM_RSRC2:SCRATCH_EN: 0
; COMPUTE_PGM_RSRC2:USER_SGPR: 6
; COMPUTE_PGM_RSRC2:TRAP_HANDLER: 0
; COMPUTE_PGM_RSRC2:TGID_X_EN: 1
; COMPUTE_PGM_RSRC2:TGID_Y_EN: 0
; COMPUTE_PGM_RSRC2:TGID_Z_EN: 0
; COMPUTE_PGM_RSRC2:TIDIG_COMP_CNT: 0
	.section	.text._Z25warp_store_guarded_kernelILj1024ELj4ELj64ELN7rocprim17ROCPRIM_304000_NS17warp_store_methodE2EiEvPT3_S4_i,"axG",@progbits,_Z25warp_store_guarded_kernelILj1024ELj4ELj64ELN7rocprim17ROCPRIM_304000_NS17warp_store_methodE2EiEvPT3_S4_i,comdat
	.protected	_Z25warp_store_guarded_kernelILj1024ELj4ELj64ELN7rocprim17ROCPRIM_304000_NS17warp_store_methodE2EiEvPT3_S4_i ; -- Begin function _Z25warp_store_guarded_kernelILj1024ELj4ELj64ELN7rocprim17ROCPRIM_304000_NS17warp_store_methodE2EiEvPT3_S4_i
	.globl	_Z25warp_store_guarded_kernelILj1024ELj4ELj64ELN7rocprim17ROCPRIM_304000_NS17warp_store_methodE2EiEvPT3_S4_i
	.p2align	8
	.type	_Z25warp_store_guarded_kernelILj1024ELj4ELj64ELN7rocprim17ROCPRIM_304000_NS17warp_store_methodE2EiEvPT3_S4_i,@function
_Z25warp_store_guarded_kernelILj1024ELj4ELj64ELN7rocprim17ROCPRIM_304000_NS17warp_store_methodE2EiEvPT3_S4_i: ; @_Z25warp_store_guarded_kernelILj1024ELj4ELj64ELN7rocprim17ROCPRIM_304000_NS17warp_store_methodE2EiEvPT3_S4_i
; %bb.0:
	s_load_dwordx4 s[0:3], s[4:5], 0x0
	s_load_dword s6, s[4:5], 0x10
	v_lshlrev_b32_e32 v6, 4, v0
	v_and_b32_e32 v3, 0x3c00, v6
	v_mbcnt_lo_u32_b32 v5, -1, 0
	s_waitcnt lgkmcnt(0)
	global_load_dwordx3 v[0:2], v6, s[0:1] offset:4
	v_mov_b32_e32 v4, s3
	v_add_co_u32_e32 v3, vcc, s2, v3
	v_mbcnt_hi_u32_b32 v7, -1, v5
	v_addc_co_u32_e32 v4, vcc, 0, v4, vcc
	v_lshlrev_b32_e32 v5, 2, v7
	v_lshlrev_b32_e32 v7, 4, v7
	v_add_co_u32_e32 v3, vcc, v3, v7
	v_addc_co_u32_e32 v4, vcc, 0, v4, vcc
	v_cmp_gt_u32_e32 vcc, s6, v5
	s_and_saveexec_b64 s[2:3], vcc
	s_cbranch_execz .LBB65_2
; %bb.1:
	v_mov_b32_e32 v7, s1
	v_add_co_u32_e32 v6, vcc, s0, v6
	v_addc_co_u32_e32 v7, vcc, 0, v7, vcc
	global_load_dword v6, v[6:7], off
	s_waitcnt vmcnt(0)
	global_store_dword v[3:4], v6, off
.LBB65_2:
	s_or_b64 exec, exec, s[2:3]
	v_or_b32_e32 v6, 1, v5
	v_cmp_gt_u32_e32 vcc, s6, v6
	s_and_saveexec_b64 s[0:1], vcc
	s_cbranch_execz .LBB65_4
; %bb.3:
	s_waitcnt vmcnt(0)
	global_store_dword v[3:4], v0, off offset:4
.LBB65_4:
	s_or_b64 exec, exec, s[0:1]
	s_waitcnt vmcnt(0)
	v_or_b32_e32 v0, 2, v5
	v_cmp_gt_u32_e32 vcc, s6, v0
	s_and_saveexec_b64 s[0:1], vcc
	s_cbranch_execz .LBB65_6
; %bb.5:
	global_store_dword v[3:4], v1, off offset:8
.LBB65_6:
	s_or_b64 exec, exec, s[0:1]
	v_or_b32_e32 v0, 3, v5
	v_cmp_gt_u32_e32 vcc, s6, v0
	s_and_saveexec_b64 s[0:1], vcc
	s_cbranch_execz .LBB65_8
; %bb.7:
	global_store_dword v[3:4], v2, off offset:12
.LBB65_8:
	s_endpgm
	.section	.rodata,"a",@progbits
	.p2align	6, 0x0
	.amdhsa_kernel _Z25warp_store_guarded_kernelILj1024ELj4ELj64ELN7rocprim17ROCPRIM_304000_NS17warp_store_methodE2EiEvPT3_S4_i
		.amdhsa_group_segment_fixed_size 0
		.amdhsa_private_segment_fixed_size 0
		.amdhsa_kernarg_size 20
		.amdhsa_user_sgpr_count 6
		.amdhsa_user_sgpr_private_segment_buffer 1
		.amdhsa_user_sgpr_dispatch_ptr 0
		.amdhsa_user_sgpr_queue_ptr 0
		.amdhsa_user_sgpr_kernarg_segment_ptr 1
		.amdhsa_user_sgpr_dispatch_id 0
		.amdhsa_user_sgpr_flat_scratch_init 0
		.amdhsa_user_sgpr_private_segment_size 0
		.amdhsa_uses_dynamic_stack 0
		.amdhsa_system_sgpr_private_segment_wavefront_offset 0
		.amdhsa_system_sgpr_workgroup_id_x 1
		.amdhsa_system_sgpr_workgroup_id_y 0
		.amdhsa_system_sgpr_workgroup_id_z 0
		.amdhsa_system_sgpr_workgroup_info 0
		.amdhsa_system_vgpr_workitem_id 0
		.amdhsa_next_free_vgpr 8
		.amdhsa_next_free_sgpr 7
		.amdhsa_reserve_vcc 1
		.amdhsa_reserve_flat_scratch 0
		.amdhsa_float_round_mode_32 0
		.amdhsa_float_round_mode_16_64 0
		.amdhsa_float_denorm_mode_32 3
		.amdhsa_float_denorm_mode_16_64 3
		.amdhsa_dx10_clamp 1
		.amdhsa_ieee_mode 1
		.amdhsa_fp16_overflow 0
		.amdhsa_exception_fp_ieee_invalid_op 0
		.amdhsa_exception_fp_denorm_src 0
		.amdhsa_exception_fp_ieee_div_zero 0
		.amdhsa_exception_fp_ieee_overflow 0
		.amdhsa_exception_fp_ieee_underflow 0
		.amdhsa_exception_fp_ieee_inexact 0
		.amdhsa_exception_int_div_zero 0
	.end_amdhsa_kernel
	.section	.text._Z25warp_store_guarded_kernelILj1024ELj4ELj64ELN7rocprim17ROCPRIM_304000_NS17warp_store_methodE2EiEvPT3_S4_i,"axG",@progbits,_Z25warp_store_guarded_kernelILj1024ELj4ELj64ELN7rocprim17ROCPRIM_304000_NS17warp_store_methodE2EiEvPT3_S4_i,comdat
.Lfunc_end65:
	.size	_Z25warp_store_guarded_kernelILj1024ELj4ELj64ELN7rocprim17ROCPRIM_304000_NS17warp_store_methodE2EiEvPT3_S4_i, .Lfunc_end65-_Z25warp_store_guarded_kernelILj1024ELj4ELj64ELN7rocprim17ROCPRIM_304000_NS17warp_store_methodE2EiEvPT3_S4_i
                                        ; -- End function
	.set _Z25warp_store_guarded_kernelILj1024ELj4ELj64ELN7rocprim17ROCPRIM_304000_NS17warp_store_methodE2EiEvPT3_S4_i.num_vgpr, 8
	.set _Z25warp_store_guarded_kernelILj1024ELj4ELj64ELN7rocprim17ROCPRIM_304000_NS17warp_store_methodE2EiEvPT3_S4_i.num_agpr, 0
	.set _Z25warp_store_guarded_kernelILj1024ELj4ELj64ELN7rocprim17ROCPRIM_304000_NS17warp_store_methodE2EiEvPT3_S4_i.numbered_sgpr, 7
	.set _Z25warp_store_guarded_kernelILj1024ELj4ELj64ELN7rocprim17ROCPRIM_304000_NS17warp_store_methodE2EiEvPT3_S4_i.num_named_barrier, 0
	.set _Z25warp_store_guarded_kernelILj1024ELj4ELj64ELN7rocprim17ROCPRIM_304000_NS17warp_store_methodE2EiEvPT3_S4_i.private_seg_size, 0
	.set _Z25warp_store_guarded_kernelILj1024ELj4ELj64ELN7rocprim17ROCPRIM_304000_NS17warp_store_methodE2EiEvPT3_S4_i.uses_vcc, 1
	.set _Z25warp_store_guarded_kernelILj1024ELj4ELj64ELN7rocprim17ROCPRIM_304000_NS17warp_store_methodE2EiEvPT3_S4_i.uses_flat_scratch, 0
	.set _Z25warp_store_guarded_kernelILj1024ELj4ELj64ELN7rocprim17ROCPRIM_304000_NS17warp_store_methodE2EiEvPT3_S4_i.has_dyn_sized_stack, 0
	.set _Z25warp_store_guarded_kernelILj1024ELj4ELj64ELN7rocprim17ROCPRIM_304000_NS17warp_store_methodE2EiEvPT3_S4_i.has_recursion, 0
	.set _Z25warp_store_guarded_kernelILj1024ELj4ELj64ELN7rocprim17ROCPRIM_304000_NS17warp_store_methodE2EiEvPT3_S4_i.has_indirect_call, 0
	.section	.AMDGPU.csdata,"",@progbits
; Kernel info:
; codeLenInByte = 224
; TotalNumSgprs: 11
; NumVgprs: 8
; ScratchSize: 0
; MemoryBound: 0
; FloatMode: 240
; IeeeMode: 1
; LDSByteSize: 0 bytes/workgroup (compile time only)
; SGPRBlocks: 1
; VGPRBlocks: 1
; NumSGPRsForWavesPerEU: 11
; NumVGPRsForWavesPerEU: 8
; Occupancy: 10
; WaveLimiterHint : 0
; COMPUTE_PGM_RSRC2:SCRATCH_EN: 0
; COMPUTE_PGM_RSRC2:USER_SGPR: 6
; COMPUTE_PGM_RSRC2:TRAP_HANDLER: 0
; COMPUTE_PGM_RSRC2:TGID_X_EN: 1
; COMPUTE_PGM_RSRC2:TGID_Y_EN: 0
; COMPUTE_PGM_RSRC2:TGID_Z_EN: 0
; COMPUTE_PGM_RSRC2:TIDIG_COMP_CNT: 0
	.section	.text._Z25warp_store_guarded_kernelILj1024ELj4ELj64ELN7rocprim17ROCPRIM_304000_NS17warp_store_methodE1EiEvPT3_S4_i,"axG",@progbits,_Z25warp_store_guarded_kernelILj1024ELj4ELj64ELN7rocprim17ROCPRIM_304000_NS17warp_store_methodE1EiEvPT3_S4_i,comdat
	.protected	_Z25warp_store_guarded_kernelILj1024ELj4ELj64ELN7rocprim17ROCPRIM_304000_NS17warp_store_methodE1EiEvPT3_S4_i ; -- Begin function _Z25warp_store_guarded_kernelILj1024ELj4ELj64ELN7rocprim17ROCPRIM_304000_NS17warp_store_methodE1EiEvPT3_S4_i
	.globl	_Z25warp_store_guarded_kernelILj1024ELj4ELj64ELN7rocprim17ROCPRIM_304000_NS17warp_store_methodE1EiEvPT3_S4_i
	.p2align	8
	.type	_Z25warp_store_guarded_kernelILj1024ELj4ELj64ELN7rocprim17ROCPRIM_304000_NS17warp_store_methodE1EiEvPT3_S4_i,@function
_Z25warp_store_guarded_kernelILj1024ELj4ELj64ELN7rocprim17ROCPRIM_304000_NS17warp_store_methodE1EiEvPT3_S4_i: ; @_Z25warp_store_guarded_kernelILj1024ELj4ELj64ELN7rocprim17ROCPRIM_304000_NS17warp_store_methodE1EiEvPT3_S4_i
; %bb.0:
	s_load_dwordx4 s[0:3], s[4:5], 0x0
	s_load_dword s6, s[4:5], 0x10
	v_lshlrev_b32_e32 v6, 4, v0
	v_and_b32_e32 v3, 0x3c00, v6
	v_mbcnt_lo_u32_b32 v5, -1, 0
	s_waitcnt lgkmcnt(0)
	global_load_dwordx3 v[0:2], v6, s[0:1] offset:4
	v_mov_b32_e32 v4, s3
	v_add_co_u32_e32 v3, vcc, s2, v3
	v_mbcnt_hi_u32_b32 v5, -1, v5
	v_addc_co_u32_e32 v4, vcc, 0, v4, vcc
	v_lshlrev_b32_e32 v7, 2, v5
	v_and_b32_e32 v8, 0x100, v7
	v_add_co_u32_e32 v3, vcc, v3, v7
	v_addc_co_u32_e32 v4, vcc, 0, v4, vcc
	v_lshlrev_b32_e32 v7, 2, v8
	v_add_co_u32_e32 v3, vcc, v3, v7
	v_addc_co_u32_e32 v4, vcc, 0, v4, vcc
	v_or_b32_e32 v5, v8, v5
	v_cmp_gt_u32_e32 vcc, s6, v5
	s_and_saveexec_b64 s[2:3], vcc
	s_cbranch_execz .LBB66_2
; %bb.1:
	v_mov_b32_e32 v7, s1
	v_add_co_u32_e32 v6, vcc, s0, v6
	v_addc_co_u32_e32 v7, vcc, 0, v7, vcc
	global_load_dword v6, v[6:7], off
	s_waitcnt vmcnt(0)
	global_store_dword v[3:4], v6, off
.LBB66_2:
	s_or_b64 exec, exec, s[2:3]
	v_add_u32_e32 v6, 64, v5
	v_cmp_gt_u32_e32 vcc, s6, v6
	s_and_saveexec_b64 s[0:1], vcc
	s_cbranch_execz .LBB66_4
; %bb.3:
	s_waitcnt vmcnt(0)
	global_store_dword v[3:4], v0, off offset:256
.LBB66_4:
	s_or_b64 exec, exec, s[0:1]
	s_waitcnt vmcnt(0)
	v_add_u32_e32 v0, 0x80, v5
	v_cmp_gt_u32_e32 vcc, s6, v0
	s_and_saveexec_b64 s[0:1], vcc
	s_cbranch_execz .LBB66_6
; %bb.5:
	global_store_dword v[3:4], v1, off offset:512
.LBB66_6:
	s_or_b64 exec, exec, s[0:1]
	v_add_u32_e32 v0, 0xc0, v5
	v_cmp_gt_u32_e32 vcc, s6, v0
	s_and_saveexec_b64 s[0:1], vcc
	s_cbranch_execz .LBB66_8
; %bb.7:
	global_store_dword v[3:4], v2, off offset:768
.LBB66_8:
	s_endpgm
	.section	.rodata,"a",@progbits
	.p2align	6, 0x0
	.amdhsa_kernel _Z25warp_store_guarded_kernelILj1024ELj4ELj64ELN7rocprim17ROCPRIM_304000_NS17warp_store_methodE1EiEvPT3_S4_i
		.amdhsa_group_segment_fixed_size 0
		.amdhsa_private_segment_fixed_size 0
		.amdhsa_kernarg_size 20
		.amdhsa_user_sgpr_count 6
		.amdhsa_user_sgpr_private_segment_buffer 1
		.amdhsa_user_sgpr_dispatch_ptr 0
		.amdhsa_user_sgpr_queue_ptr 0
		.amdhsa_user_sgpr_kernarg_segment_ptr 1
		.amdhsa_user_sgpr_dispatch_id 0
		.amdhsa_user_sgpr_flat_scratch_init 0
		.amdhsa_user_sgpr_private_segment_size 0
		.amdhsa_uses_dynamic_stack 0
		.amdhsa_system_sgpr_private_segment_wavefront_offset 0
		.amdhsa_system_sgpr_workgroup_id_x 1
		.amdhsa_system_sgpr_workgroup_id_y 0
		.amdhsa_system_sgpr_workgroup_id_z 0
		.amdhsa_system_sgpr_workgroup_info 0
		.amdhsa_system_vgpr_workitem_id 0
		.amdhsa_next_free_vgpr 9
		.amdhsa_next_free_sgpr 7
		.amdhsa_reserve_vcc 1
		.amdhsa_reserve_flat_scratch 0
		.amdhsa_float_round_mode_32 0
		.amdhsa_float_round_mode_16_64 0
		.amdhsa_float_denorm_mode_32 3
		.amdhsa_float_denorm_mode_16_64 3
		.amdhsa_dx10_clamp 1
		.amdhsa_ieee_mode 1
		.amdhsa_fp16_overflow 0
		.amdhsa_exception_fp_ieee_invalid_op 0
		.amdhsa_exception_fp_denorm_src 0
		.amdhsa_exception_fp_ieee_div_zero 0
		.amdhsa_exception_fp_ieee_overflow 0
		.amdhsa_exception_fp_ieee_underflow 0
		.amdhsa_exception_fp_ieee_inexact 0
		.amdhsa_exception_int_div_zero 0
	.end_amdhsa_kernel
	.section	.text._Z25warp_store_guarded_kernelILj1024ELj4ELj64ELN7rocprim17ROCPRIM_304000_NS17warp_store_methodE1EiEvPT3_S4_i,"axG",@progbits,_Z25warp_store_guarded_kernelILj1024ELj4ELj64ELN7rocprim17ROCPRIM_304000_NS17warp_store_methodE1EiEvPT3_S4_i,comdat
.Lfunc_end66:
	.size	_Z25warp_store_guarded_kernelILj1024ELj4ELj64ELN7rocprim17ROCPRIM_304000_NS17warp_store_methodE1EiEvPT3_S4_i, .Lfunc_end66-_Z25warp_store_guarded_kernelILj1024ELj4ELj64ELN7rocprim17ROCPRIM_304000_NS17warp_store_methodE1EiEvPT3_S4_i
                                        ; -- End function
	.set _Z25warp_store_guarded_kernelILj1024ELj4ELj64ELN7rocprim17ROCPRIM_304000_NS17warp_store_methodE1EiEvPT3_S4_i.num_vgpr, 9
	.set _Z25warp_store_guarded_kernelILj1024ELj4ELj64ELN7rocprim17ROCPRIM_304000_NS17warp_store_methodE1EiEvPT3_S4_i.num_agpr, 0
	.set _Z25warp_store_guarded_kernelILj1024ELj4ELj64ELN7rocprim17ROCPRIM_304000_NS17warp_store_methodE1EiEvPT3_S4_i.numbered_sgpr, 7
	.set _Z25warp_store_guarded_kernelILj1024ELj4ELj64ELN7rocprim17ROCPRIM_304000_NS17warp_store_methodE1EiEvPT3_S4_i.num_named_barrier, 0
	.set _Z25warp_store_guarded_kernelILj1024ELj4ELj64ELN7rocprim17ROCPRIM_304000_NS17warp_store_methodE1EiEvPT3_S4_i.private_seg_size, 0
	.set _Z25warp_store_guarded_kernelILj1024ELj4ELj64ELN7rocprim17ROCPRIM_304000_NS17warp_store_methodE1EiEvPT3_S4_i.uses_vcc, 1
	.set _Z25warp_store_guarded_kernelILj1024ELj4ELj64ELN7rocprim17ROCPRIM_304000_NS17warp_store_methodE1EiEvPT3_S4_i.uses_flat_scratch, 0
	.set _Z25warp_store_guarded_kernelILj1024ELj4ELj64ELN7rocprim17ROCPRIM_304000_NS17warp_store_methodE1EiEvPT3_S4_i.has_dyn_sized_stack, 0
	.set _Z25warp_store_guarded_kernelILj1024ELj4ELj64ELN7rocprim17ROCPRIM_304000_NS17warp_store_methodE1EiEvPT3_S4_i.has_recursion, 0
	.set _Z25warp_store_guarded_kernelILj1024ELj4ELj64ELN7rocprim17ROCPRIM_304000_NS17warp_store_methodE1EiEvPT3_S4_i.has_indirect_call, 0
	.section	.AMDGPU.csdata,"",@progbits
; Kernel info:
; codeLenInByte = 252
; TotalNumSgprs: 11
; NumVgprs: 9
; ScratchSize: 0
; MemoryBound: 0
; FloatMode: 240
; IeeeMode: 1
; LDSByteSize: 0 bytes/workgroup (compile time only)
; SGPRBlocks: 1
; VGPRBlocks: 2
; NumSGPRsForWavesPerEU: 11
; NumVGPRsForWavesPerEU: 9
; Occupancy: 10
; WaveLimiterHint : 0
; COMPUTE_PGM_RSRC2:SCRATCH_EN: 0
; COMPUTE_PGM_RSRC2:USER_SGPR: 6
; COMPUTE_PGM_RSRC2:TRAP_HANDLER: 0
; COMPUTE_PGM_RSRC2:TGID_X_EN: 1
; COMPUTE_PGM_RSRC2:TGID_Y_EN: 0
; COMPUTE_PGM_RSRC2:TGID_Z_EN: 0
; COMPUTE_PGM_RSRC2:TIDIG_COMP_CNT: 0
	.section	.text._Z25warp_store_guarded_kernelILj1024ELj4ELj64ELN7rocprim17ROCPRIM_304000_NS17warp_store_methodE0EiEvPT3_S4_i,"axG",@progbits,_Z25warp_store_guarded_kernelILj1024ELj4ELj64ELN7rocprim17ROCPRIM_304000_NS17warp_store_methodE0EiEvPT3_S4_i,comdat
	.protected	_Z25warp_store_guarded_kernelILj1024ELj4ELj64ELN7rocprim17ROCPRIM_304000_NS17warp_store_methodE0EiEvPT3_S4_i ; -- Begin function _Z25warp_store_guarded_kernelILj1024ELj4ELj64ELN7rocprim17ROCPRIM_304000_NS17warp_store_methodE0EiEvPT3_S4_i
	.globl	_Z25warp_store_guarded_kernelILj1024ELj4ELj64ELN7rocprim17ROCPRIM_304000_NS17warp_store_methodE0EiEvPT3_S4_i
	.p2align	8
	.type	_Z25warp_store_guarded_kernelILj1024ELj4ELj64ELN7rocprim17ROCPRIM_304000_NS17warp_store_methodE0EiEvPT3_S4_i,@function
_Z25warp_store_guarded_kernelILj1024ELj4ELj64ELN7rocprim17ROCPRIM_304000_NS17warp_store_methodE0EiEvPT3_S4_i: ; @_Z25warp_store_guarded_kernelILj1024ELj4ELj64ELN7rocprim17ROCPRIM_304000_NS17warp_store_methodE0EiEvPT3_S4_i
; %bb.0:
	s_load_dwordx4 s[0:3], s[4:5], 0x0
	s_load_dword s6, s[4:5], 0x10
	v_lshlrev_b32_e32 v6, 4, v0
	v_and_b32_e32 v3, 0x3c00, v6
	v_mbcnt_lo_u32_b32 v5, -1, 0
	s_waitcnt lgkmcnt(0)
	global_load_dwordx3 v[0:2], v6, s[0:1] offset:4
	v_mov_b32_e32 v4, s3
	v_add_co_u32_e32 v3, vcc, s2, v3
	v_mbcnt_hi_u32_b32 v7, -1, v5
	v_addc_co_u32_e32 v4, vcc, 0, v4, vcc
	v_lshlrev_b32_e32 v5, 2, v7
	v_lshlrev_b32_e32 v7, 4, v7
	v_add_co_u32_e32 v3, vcc, v3, v7
	v_addc_co_u32_e32 v4, vcc, 0, v4, vcc
	v_cmp_gt_u32_e32 vcc, s6, v5
	s_and_saveexec_b64 s[2:3], vcc
	s_cbranch_execz .LBB67_2
; %bb.1:
	v_mov_b32_e32 v7, s1
	v_add_co_u32_e32 v6, vcc, s0, v6
	v_addc_co_u32_e32 v7, vcc, 0, v7, vcc
	global_load_dword v6, v[6:7], off
	s_waitcnt vmcnt(0)
	global_store_dword v[3:4], v6, off
.LBB67_2:
	s_or_b64 exec, exec, s[2:3]
	v_or_b32_e32 v6, 1, v5
	v_cmp_gt_u32_e32 vcc, s6, v6
	s_and_saveexec_b64 s[0:1], vcc
	s_cbranch_execz .LBB67_4
; %bb.3:
	s_waitcnt vmcnt(0)
	global_store_dword v[3:4], v0, off offset:4
.LBB67_4:
	s_or_b64 exec, exec, s[0:1]
	s_waitcnt vmcnt(0)
	v_or_b32_e32 v0, 2, v5
	v_cmp_gt_u32_e32 vcc, s6, v0
	s_and_saveexec_b64 s[0:1], vcc
	s_cbranch_execz .LBB67_6
; %bb.5:
	global_store_dword v[3:4], v1, off offset:8
.LBB67_6:
	s_or_b64 exec, exec, s[0:1]
	v_or_b32_e32 v0, 3, v5
	v_cmp_gt_u32_e32 vcc, s6, v0
	s_and_saveexec_b64 s[0:1], vcc
	s_cbranch_execz .LBB67_8
; %bb.7:
	global_store_dword v[3:4], v2, off offset:12
.LBB67_8:
	s_endpgm
	.section	.rodata,"a",@progbits
	.p2align	6, 0x0
	.amdhsa_kernel _Z25warp_store_guarded_kernelILj1024ELj4ELj64ELN7rocprim17ROCPRIM_304000_NS17warp_store_methodE0EiEvPT3_S4_i
		.amdhsa_group_segment_fixed_size 0
		.amdhsa_private_segment_fixed_size 0
		.amdhsa_kernarg_size 20
		.amdhsa_user_sgpr_count 6
		.amdhsa_user_sgpr_private_segment_buffer 1
		.amdhsa_user_sgpr_dispatch_ptr 0
		.amdhsa_user_sgpr_queue_ptr 0
		.amdhsa_user_sgpr_kernarg_segment_ptr 1
		.amdhsa_user_sgpr_dispatch_id 0
		.amdhsa_user_sgpr_flat_scratch_init 0
		.amdhsa_user_sgpr_private_segment_size 0
		.amdhsa_uses_dynamic_stack 0
		.amdhsa_system_sgpr_private_segment_wavefront_offset 0
		.amdhsa_system_sgpr_workgroup_id_x 1
		.amdhsa_system_sgpr_workgroup_id_y 0
		.amdhsa_system_sgpr_workgroup_id_z 0
		.amdhsa_system_sgpr_workgroup_info 0
		.amdhsa_system_vgpr_workitem_id 0
		.amdhsa_next_free_vgpr 8
		.amdhsa_next_free_sgpr 7
		.amdhsa_reserve_vcc 1
		.amdhsa_reserve_flat_scratch 0
		.amdhsa_float_round_mode_32 0
		.amdhsa_float_round_mode_16_64 0
		.amdhsa_float_denorm_mode_32 3
		.amdhsa_float_denorm_mode_16_64 3
		.amdhsa_dx10_clamp 1
		.amdhsa_ieee_mode 1
		.amdhsa_fp16_overflow 0
		.amdhsa_exception_fp_ieee_invalid_op 0
		.amdhsa_exception_fp_denorm_src 0
		.amdhsa_exception_fp_ieee_div_zero 0
		.amdhsa_exception_fp_ieee_overflow 0
		.amdhsa_exception_fp_ieee_underflow 0
		.amdhsa_exception_fp_ieee_inexact 0
		.amdhsa_exception_int_div_zero 0
	.end_amdhsa_kernel
	.section	.text._Z25warp_store_guarded_kernelILj1024ELj4ELj64ELN7rocprim17ROCPRIM_304000_NS17warp_store_methodE0EiEvPT3_S4_i,"axG",@progbits,_Z25warp_store_guarded_kernelILj1024ELj4ELj64ELN7rocprim17ROCPRIM_304000_NS17warp_store_methodE0EiEvPT3_S4_i,comdat
.Lfunc_end67:
	.size	_Z25warp_store_guarded_kernelILj1024ELj4ELj64ELN7rocprim17ROCPRIM_304000_NS17warp_store_methodE0EiEvPT3_S4_i, .Lfunc_end67-_Z25warp_store_guarded_kernelILj1024ELj4ELj64ELN7rocprim17ROCPRIM_304000_NS17warp_store_methodE0EiEvPT3_S4_i
                                        ; -- End function
	.set _Z25warp_store_guarded_kernelILj1024ELj4ELj64ELN7rocprim17ROCPRIM_304000_NS17warp_store_methodE0EiEvPT3_S4_i.num_vgpr, 8
	.set _Z25warp_store_guarded_kernelILj1024ELj4ELj64ELN7rocprim17ROCPRIM_304000_NS17warp_store_methodE0EiEvPT3_S4_i.num_agpr, 0
	.set _Z25warp_store_guarded_kernelILj1024ELj4ELj64ELN7rocprim17ROCPRIM_304000_NS17warp_store_methodE0EiEvPT3_S4_i.numbered_sgpr, 7
	.set _Z25warp_store_guarded_kernelILj1024ELj4ELj64ELN7rocprim17ROCPRIM_304000_NS17warp_store_methodE0EiEvPT3_S4_i.num_named_barrier, 0
	.set _Z25warp_store_guarded_kernelILj1024ELj4ELj64ELN7rocprim17ROCPRIM_304000_NS17warp_store_methodE0EiEvPT3_S4_i.private_seg_size, 0
	.set _Z25warp_store_guarded_kernelILj1024ELj4ELj64ELN7rocprim17ROCPRIM_304000_NS17warp_store_methodE0EiEvPT3_S4_i.uses_vcc, 1
	.set _Z25warp_store_guarded_kernelILj1024ELj4ELj64ELN7rocprim17ROCPRIM_304000_NS17warp_store_methodE0EiEvPT3_S4_i.uses_flat_scratch, 0
	.set _Z25warp_store_guarded_kernelILj1024ELj4ELj64ELN7rocprim17ROCPRIM_304000_NS17warp_store_methodE0EiEvPT3_S4_i.has_dyn_sized_stack, 0
	.set _Z25warp_store_guarded_kernelILj1024ELj4ELj64ELN7rocprim17ROCPRIM_304000_NS17warp_store_methodE0EiEvPT3_S4_i.has_recursion, 0
	.set _Z25warp_store_guarded_kernelILj1024ELj4ELj64ELN7rocprim17ROCPRIM_304000_NS17warp_store_methodE0EiEvPT3_S4_i.has_indirect_call, 0
	.section	.AMDGPU.csdata,"",@progbits
; Kernel info:
; codeLenInByte = 224
; TotalNumSgprs: 11
; NumVgprs: 8
; ScratchSize: 0
; MemoryBound: 0
; FloatMode: 240
; IeeeMode: 1
; LDSByteSize: 0 bytes/workgroup (compile time only)
; SGPRBlocks: 1
; VGPRBlocks: 1
; NumSGPRsForWavesPerEU: 11
; NumVGPRsForWavesPerEU: 8
; Occupancy: 10
; WaveLimiterHint : 0
; COMPUTE_PGM_RSRC2:SCRATCH_EN: 0
; COMPUTE_PGM_RSRC2:USER_SGPR: 6
; COMPUTE_PGM_RSRC2:TRAP_HANDLER: 0
; COMPUTE_PGM_RSRC2:TGID_X_EN: 1
; COMPUTE_PGM_RSRC2:TGID_Y_EN: 0
; COMPUTE_PGM_RSRC2:TGID_Z_EN: 0
; COMPUTE_PGM_RSRC2:TIDIG_COMP_CNT: 0
	.section	.text._Z25warp_store_guarded_kernelILj1024ELj4ELj32ELN7rocprim17ROCPRIM_304000_NS17warp_store_methodE3EiEvPT3_S4_i,"axG",@progbits,_Z25warp_store_guarded_kernelILj1024ELj4ELj32ELN7rocprim17ROCPRIM_304000_NS17warp_store_methodE3EiEvPT3_S4_i,comdat
	.protected	_Z25warp_store_guarded_kernelILj1024ELj4ELj32ELN7rocprim17ROCPRIM_304000_NS17warp_store_methodE3EiEvPT3_S4_i ; -- Begin function _Z25warp_store_guarded_kernelILj1024ELj4ELj32ELN7rocprim17ROCPRIM_304000_NS17warp_store_methodE3EiEvPT3_S4_i
	.globl	_Z25warp_store_guarded_kernelILj1024ELj4ELj32ELN7rocprim17ROCPRIM_304000_NS17warp_store_methodE3EiEvPT3_S4_i
	.p2align	8
	.type	_Z25warp_store_guarded_kernelILj1024ELj4ELj32ELN7rocprim17ROCPRIM_304000_NS17warp_store_methodE3EiEvPT3_S4_i,@function
_Z25warp_store_guarded_kernelILj1024ELj4ELj32ELN7rocprim17ROCPRIM_304000_NS17warp_store_methodE3EiEvPT3_S4_i: ; @_Z25warp_store_guarded_kernelILj1024ELj4ELj32ELN7rocprim17ROCPRIM_304000_NS17warp_store_methodE3EiEvPT3_S4_i
; %bb.0:
	s_load_dwordx4 s[8:11], s[4:5], 0x0
	s_load_dword s2, s[4:5], 0x10
	v_lshlrev_b32_e32 v4, 4, v0
	v_mbcnt_lo_u32_b32 v5, -1, 0
	v_mbcnt_hi_u32_b32 v5, -1, v5
	s_waitcnt lgkmcnt(0)
	global_load_dwordx4 v[0:3], v4, s[8:9]
	v_and_b32_e32 v7, 0x3e00, v4
	v_and_b32_e32 v4, 31, v5
	v_lshl_or_b32 v6, v4, 4, v7
	v_mad_i32_i24 v5, v4, -12, v6
	v_mov_b32_e32 v9, s11
	v_add_co_u32_e32 v7, vcc, s10, v7
	v_lshlrev_b32_e32 v8, 2, v4
	v_addc_co_u32_e32 v9, vcc, 0, v9, vcc
	s_waitcnt vmcnt(0)
	ds_write_b128 v6, v[0:3]
	; wave barrier
	ds_read2_b32 v[2:3], v5 offset0:32 offset1:64
	ds_read_b32 v5, v5 offset:384
	v_add_co_u32_e32 v0, vcc, v7, v8
	v_addc_co_u32_e32 v1, vcc, 0, v9, vcc
	v_cmp_gt_u32_e32 vcc, s2, v4
	s_and_saveexec_b64 s[0:1], vcc
	s_cbranch_execz .LBB68_2
; %bb.1:
	v_mul_i32_i24_e32 v7, -12, v4
	v_add_u32_e32 v6, v6, v7
	ds_read_b32 v6, v6
	s_waitcnt lgkmcnt(0)
	global_store_dword v[0:1], v6, off
.LBB68_2:
	s_or_b64 exec, exec, s[0:1]
	v_or_b32_e32 v6, 32, v4
	v_cmp_gt_u32_e32 vcc, s2, v6
	s_and_saveexec_b64 s[0:1], vcc
	s_cbranch_execz .LBB68_4
; %bb.3:
	s_waitcnt lgkmcnt(1)
	global_store_dword v[0:1], v2, off offset:128
.LBB68_4:
	s_or_b64 exec, exec, s[0:1]
	s_waitcnt lgkmcnt(1)
	v_or_b32_e32 v2, 64, v4
	v_cmp_gt_u32_e32 vcc, s2, v2
	s_and_saveexec_b64 s[0:1], vcc
	s_cbranch_execz .LBB68_6
; %bb.5:
	global_store_dword v[0:1], v3, off offset:256
.LBB68_6:
	s_or_b64 exec, exec, s[0:1]
	v_or_b32_e32 v2, 0x60, v4
	v_cmp_gt_u32_e32 vcc, s2, v2
	s_and_saveexec_b64 s[0:1], vcc
	s_cbranch_execz .LBB68_8
; %bb.7:
	s_waitcnt lgkmcnt(0)
	global_store_dword v[0:1], v5, off offset:384
.LBB68_8:
	s_endpgm
	.section	.rodata,"a",@progbits
	.p2align	6, 0x0
	.amdhsa_kernel _Z25warp_store_guarded_kernelILj1024ELj4ELj32ELN7rocprim17ROCPRIM_304000_NS17warp_store_methodE3EiEvPT3_S4_i
		.amdhsa_group_segment_fixed_size 16384
		.amdhsa_private_segment_fixed_size 0
		.amdhsa_kernarg_size 20
		.amdhsa_user_sgpr_count 6
		.amdhsa_user_sgpr_private_segment_buffer 1
		.amdhsa_user_sgpr_dispatch_ptr 0
		.amdhsa_user_sgpr_queue_ptr 0
		.amdhsa_user_sgpr_kernarg_segment_ptr 1
		.amdhsa_user_sgpr_dispatch_id 0
		.amdhsa_user_sgpr_flat_scratch_init 0
		.amdhsa_user_sgpr_private_segment_size 0
		.amdhsa_uses_dynamic_stack 0
		.amdhsa_system_sgpr_private_segment_wavefront_offset 0
		.amdhsa_system_sgpr_workgroup_id_x 1
		.amdhsa_system_sgpr_workgroup_id_y 0
		.amdhsa_system_sgpr_workgroup_id_z 0
		.amdhsa_system_sgpr_workgroup_info 0
		.amdhsa_system_vgpr_workitem_id 0
		.amdhsa_next_free_vgpr 29
		.amdhsa_next_free_sgpr 61
		.amdhsa_reserve_vcc 1
		.amdhsa_reserve_flat_scratch 0
		.amdhsa_float_round_mode_32 0
		.amdhsa_float_round_mode_16_64 0
		.amdhsa_float_denorm_mode_32 3
		.amdhsa_float_denorm_mode_16_64 3
		.amdhsa_dx10_clamp 1
		.amdhsa_ieee_mode 1
		.amdhsa_fp16_overflow 0
		.amdhsa_exception_fp_ieee_invalid_op 0
		.amdhsa_exception_fp_denorm_src 0
		.amdhsa_exception_fp_ieee_div_zero 0
		.amdhsa_exception_fp_ieee_overflow 0
		.amdhsa_exception_fp_ieee_underflow 0
		.amdhsa_exception_fp_ieee_inexact 0
		.amdhsa_exception_int_div_zero 0
	.end_amdhsa_kernel
	.section	.text._Z25warp_store_guarded_kernelILj1024ELj4ELj32ELN7rocprim17ROCPRIM_304000_NS17warp_store_methodE3EiEvPT3_S4_i,"axG",@progbits,_Z25warp_store_guarded_kernelILj1024ELj4ELj32ELN7rocprim17ROCPRIM_304000_NS17warp_store_methodE3EiEvPT3_S4_i,comdat
.Lfunc_end68:
	.size	_Z25warp_store_guarded_kernelILj1024ELj4ELj32ELN7rocprim17ROCPRIM_304000_NS17warp_store_methodE3EiEvPT3_S4_i, .Lfunc_end68-_Z25warp_store_guarded_kernelILj1024ELj4ELj32ELN7rocprim17ROCPRIM_304000_NS17warp_store_methodE3EiEvPT3_S4_i
                                        ; -- End function
	.set _Z25warp_store_guarded_kernelILj1024ELj4ELj32ELN7rocprim17ROCPRIM_304000_NS17warp_store_methodE3EiEvPT3_S4_i.num_vgpr, 10
	.set _Z25warp_store_guarded_kernelILj1024ELj4ELj32ELN7rocprim17ROCPRIM_304000_NS17warp_store_methodE3EiEvPT3_S4_i.num_agpr, 0
	.set _Z25warp_store_guarded_kernelILj1024ELj4ELj32ELN7rocprim17ROCPRIM_304000_NS17warp_store_methodE3EiEvPT3_S4_i.numbered_sgpr, 12
	.set _Z25warp_store_guarded_kernelILj1024ELj4ELj32ELN7rocprim17ROCPRIM_304000_NS17warp_store_methodE3EiEvPT3_S4_i.num_named_barrier, 0
	.set _Z25warp_store_guarded_kernelILj1024ELj4ELj32ELN7rocprim17ROCPRIM_304000_NS17warp_store_methodE3EiEvPT3_S4_i.private_seg_size, 0
	.set _Z25warp_store_guarded_kernelILj1024ELj4ELj32ELN7rocprim17ROCPRIM_304000_NS17warp_store_methodE3EiEvPT3_S4_i.uses_vcc, 1
	.set _Z25warp_store_guarded_kernelILj1024ELj4ELj32ELN7rocprim17ROCPRIM_304000_NS17warp_store_methodE3EiEvPT3_S4_i.uses_flat_scratch, 0
	.set _Z25warp_store_guarded_kernelILj1024ELj4ELj32ELN7rocprim17ROCPRIM_304000_NS17warp_store_methodE3EiEvPT3_S4_i.has_dyn_sized_stack, 0
	.set _Z25warp_store_guarded_kernelILj1024ELj4ELj32ELN7rocprim17ROCPRIM_304000_NS17warp_store_methodE3EiEvPT3_S4_i.has_recursion, 0
	.set _Z25warp_store_guarded_kernelILj1024ELj4ELj32ELN7rocprim17ROCPRIM_304000_NS17warp_store_methodE3EiEvPT3_S4_i.has_indirect_call, 0
	.section	.AMDGPU.csdata,"",@progbits
; Kernel info:
; codeLenInByte = 272
; TotalNumSgprs: 16
; NumVgprs: 10
; ScratchSize: 0
; MemoryBound: 0
; FloatMode: 240
; IeeeMode: 1
; LDSByteSize: 16384 bytes/workgroup (compile time only)
; SGPRBlocks: 8
; VGPRBlocks: 7
; NumSGPRsForWavesPerEU: 65
; NumVGPRsForWavesPerEU: 29
; Occupancy: 8
; WaveLimiterHint : 0
; COMPUTE_PGM_RSRC2:SCRATCH_EN: 0
; COMPUTE_PGM_RSRC2:USER_SGPR: 6
; COMPUTE_PGM_RSRC2:TRAP_HANDLER: 0
; COMPUTE_PGM_RSRC2:TGID_X_EN: 1
; COMPUTE_PGM_RSRC2:TGID_Y_EN: 0
; COMPUTE_PGM_RSRC2:TGID_Z_EN: 0
; COMPUTE_PGM_RSRC2:TIDIG_COMP_CNT: 0
	.section	.text._Z25warp_store_guarded_kernelILj1024ELj4ELj32ELN7rocprim17ROCPRIM_304000_NS17warp_store_methodE2EiEvPT3_S4_i,"axG",@progbits,_Z25warp_store_guarded_kernelILj1024ELj4ELj32ELN7rocprim17ROCPRIM_304000_NS17warp_store_methodE2EiEvPT3_S4_i,comdat
	.protected	_Z25warp_store_guarded_kernelILj1024ELj4ELj32ELN7rocprim17ROCPRIM_304000_NS17warp_store_methodE2EiEvPT3_S4_i ; -- Begin function _Z25warp_store_guarded_kernelILj1024ELj4ELj32ELN7rocprim17ROCPRIM_304000_NS17warp_store_methodE2EiEvPT3_S4_i
	.globl	_Z25warp_store_guarded_kernelILj1024ELj4ELj32ELN7rocprim17ROCPRIM_304000_NS17warp_store_methodE2EiEvPT3_S4_i
	.p2align	8
	.type	_Z25warp_store_guarded_kernelILj1024ELj4ELj32ELN7rocprim17ROCPRIM_304000_NS17warp_store_methodE2EiEvPT3_S4_i,@function
_Z25warp_store_guarded_kernelILj1024ELj4ELj32ELN7rocprim17ROCPRIM_304000_NS17warp_store_methodE2EiEvPT3_S4_i: ; @_Z25warp_store_guarded_kernelILj1024ELj4ELj32ELN7rocprim17ROCPRIM_304000_NS17warp_store_methodE2EiEvPT3_S4_i
; %bb.0:
	s_load_dwordx4 s[0:3], s[4:5], 0x0
	s_load_dword s6, s[4:5], 0x10
	v_lshlrev_b32_e32 v6, 4, v0
	v_mbcnt_lo_u32_b32 v5, -1, 0
	v_mbcnt_hi_u32_b32 v5, -1, v5
	s_waitcnt lgkmcnt(0)
	global_load_dwordx3 v[0:2], v6, s[0:1] offset:4
	v_and_b32_e32 v3, 0x3e00, v6
	v_lshlrev_b32_e32 v5, 2, v5
	v_mov_b32_e32 v4, s3
	v_add_co_u32_e32 v3, vcc, s2, v3
	v_and_b32_e32 v5, 0x7c, v5
	v_addc_co_u32_e32 v4, vcc, 0, v4, vcc
	v_lshlrev_b32_e32 v7, 2, v5
	v_add_co_u32_e32 v3, vcc, v3, v7
	v_addc_co_u32_e32 v4, vcc, 0, v4, vcc
	v_cmp_gt_u32_e32 vcc, s6, v5
	s_and_saveexec_b64 s[2:3], vcc
	s_cbranch_execz .LBB69_2
; %bb.1:
	v_mov_b32_e32 v7, s1
	v_add_co_u32_e32 v6, vcc, s0, v6
	v_addc_co_u32_e32 v7, vcc, 0, v7, vcc
	global_load_dword v6, v[6:7], off
	s_waitcnt vmcnt(0)
	global_store_dword v[3:4], v6, off
.LBB69_2:
	s_or_b64 exec, exec, s[2:3]
	v_or_b32_e32 v6, 1, v5
	v_cmp_gt_u32_e32 vcc, s6, v6
	s_and_saveexec_b64 s[0:1], vcc
	s_cbranch_execz .LBB69_4
; %bb.3:
	s_waitcnt vmcnt(0)
	global_store_dword v[3:4], v0, off offset:4
.LBB69_4:
	s_or_b64 exec, exec, s[0:1]
	s_waitcnt vmcnt(0)
	v_or_b32_e32 v0, 2, v5
	v_cmp_gt_u32_e32 vcc, s6, v0
	s_and_saveexec_b64 s[0:1], vcc
	s_cbranch_execz .LBB69_6
; %bb.5:
	global_store_dword v[3:4], v1, off offset:8
.LBB69_6:
	s_or_b64 exec, exec, s[0:1]
	v_or_b32_e32 v0, 3, v5
	v_cmp_gt_u32_e32 vcc, s6, v0
	s_and_saveexec_b64 s[0:1], vcc
	s_cbranch_execz .LBB69_8
; %bb.7:
	global_store_dword v[3:4], v2, off offset:12
.LBB69_8:
	s_endpgm
	.section	.rodata,"a",@progbits
	.p2align	6, 0x0
	.amdhsa_kernel _Z25warp_store_guarded_kernelILj1024ELj4ELj32ELN7rocprim17ROCPRIM_304000_NS17warp_store_methodE2EiEvPT3_S4_i
		.amdhsa_group_segment_fixed_size 0
		.amdhsa_private_segment_fixed_size 0
		.amdhsa_kernarg_size 20
		.amdhsa_user_sgpr_count 6
		.amdhsa_user_sgpr_private_segment_buffer 1
		.amdhsa_user_sgpr_dispatch_ptr 0
		.amdhsa_user_sgpr_queue_ptr 0
		.amdhsa_user_sgpr_kernarg_segment_ptr 1
		.amdhsa_user_sgpr_dispatch_id 0
		.amdhsa_user_sgpr_flat_scratch_init 0
		.amdhsa_user_sgpr_private_segment_size 0
		.amdhsa_uses_dynamic_stack 0
		.amdhsa_system_sgpr_private_segment_wavefront_offset 0
		.amdhsa_system_sgpr_workgroup_id_x 1
		.amdhsa_system_sgpr_workgroup_id_y 0
		.amdhsa_system_sgpr_workgroup_id_z 0
		.amdhsa_system_sgpr_workgroup_info 0
		.amdhsa_system_vgpr_workitem_id 0
		.amdhsa_next_free_vgpr 8
		.amdhsa_next_free_sgpr 7
		.amdhsa_reserve_vcc 1
		.amdhsa_reserve_flat_scratch 0
		.amdhsa_float_round_mode_32 0
		.amdhsa_float_round_mode_16_64 0
		.amdhsa_float_denorm_mode_32 3
		.amdhsa_float_denorm_mode_16_64 3
		.amdhsa_dx10_clamp 1
		.amdhsa_ieee_mode 1
		.amdhsa_fp16_overflow 0
		.amdhsa_exception_fp_ieee_invalid_op 0
		.amdhsa_exception_fp_denorm_src 0
		.amdhsa_exception_fp_ieee_div_zero 0
		.amdhsa_exception_fp_ieee_overflow 0
		.amdhsa_exception_fp_ieee_underflow 0
		.amdhsa_exception_fp_ieee_inexact 0
		.amdhsa_exception_int_div_zero 0
	.end_amdhsa_kernel
	.section	.text._Z25warp_store_guarded_kernelILj1024ELj4ELj32ELN7rocprim17ROCPRIM_304000_NS17warp_store_methodE2EiEvPT3_S4_i,"axG",@progbits,_Z25warp_store_guarded_kernelILj1024ELj4ELj32ELN7rocprim17ROCPRIM_304000_NS17warp_store_methodE2EiEvPT3_S4_i,comdat
.Lfunc_end69:
	.size	_Z25warp_store_guarded_kernelILj1024ELj4ELj32ELN7rocprim17ROCPRIM_304000_NS17warp_store_methodE2EiEvPT3_S4_i, .Lfunc_end69-_Z25warp_store_guarded_kernelILj1024ELj4ELj32ELN7rocprim17ROCPRIM_304000_NS17warp_store_methodE2EiEvPT3_S4_i
                                        ; -- End function
	.set _Z25warp_store_guarded_kernelILj1024ELj4ELj32ELN7rocprim17ROCPRIM_304000_NS17warp_store_methodE2EiEvPT3_S4_i.num_vgpr, 8
	.set _Z25warp_store_guarded_kernelILj1024ELj4ELj32ELN7rocprim17ROCPRIM_304000_NS17warp_store_methodE2EiEvPT3_S4_i.num_agpr, 0
	.set _Z25warp_store_guarded_kernelILj1024ELj4ELj32ELN7rocprim17ROCPRIM_304000_NS17warp_store_methodE2EiEvPT3_S4_i.numbered_sgpr, 7
	.set _Z25warp_store_guarded_kernelILj1024ELj4ELj32ELN7rocprim17ROCPRIM_304000_NS17warp_store_methodE2EiEvPT3_S4_i.num_named_barrier, 0
	.set _Z25warp_store_guarded_kernelILj1024ELj4ELj32ELN7rocprim17ROCPRIM_304000_NS17warp_store_methodE2EiEvPT3_S4_i.private_seg_size, 0
	.set _Z25warp_store_guarded_kernelILj1024ELj4ELj32ELN7rocprim17ROCPRIM_304000_NS17warp_store_methodE2EiEvPT3_S4_i.uses_vcc, 1
	.set _Z25warp_store_guarded_kernelILj1024ELj4ELj32ELN7rocprim17ROCPRIM_304000_NS17warp_store_methodE2EiEvPT3_S4_i.uses_flat_scratch, 0
	.set _Z25warp_store_guarded_kernelILj1024ELj4ELj32ELN7rocprim17ROCPRIM_304000_NS17warp_store_methodE2EiEvPT3_S4_i.has_dyn_sized_stack, 0
	.set _Z25warp_store_guarded_kernelILj1024ELj4ELj32ELN7rocprim17ROCPRIM_304000_NS17warp_store_methodE2EiEvPT3_S4_i.has_recursion, 0
	.set _Z25warp_store_guarded_kernelILj1024ELj4ELj32ELN7rocprim17ROCPRIM_304000_NS17warp_store_methodE2EiEvPT3_S4_i.has_indirect_call, 0
	.section	.AMDGPU.csdata,"",@progbits
; Kernel info:
; codeLenInByte = 232
; TotalNumSgprs: 11
; NumVgprs: 8
; ScratchSize: 0
; MemoryBound: 0
; FloatMode: 240
; IeeeMode: 1
; LDSByteSize: 0 bytes/workgroup (compile time only)
; SGPRBlocks: 1
; VGPRBlocks: 1
; NumSGPRsForWavesPerEU: 11
; NumVGPRsForWavesPerEU: 8
; Occupancy: 10
; WaveLimiterHint : 0
; COMPUTE_PGM_RSRC2:SCRATCH_EN: 0
; COMPUTE_PGM_RSRC2:USER_SGPR: 6
; COMPUTE_PGM_RSRC2:TRAP_HANDLER: 0
; COMPUTE_PGM_RSRC2:TGID_X_EN: 1
; COMPUTE_PGM_RSRC2:TGID_Y_EN: 0
; COMPUTE_PGM_RSRC2:TGID_Z_EN: 0
; COMPUTE_PGM_RSRC2:TIDIG_COMP_CNT: 0
	.section	.text._Z25warp_store_guarded_kernelILj1024ELj4ELj32ELN7rocprim17ROCPRIM_304000_NS17warp_store_methodE1EiEvPT3_S4_i,"axG",@progbits,_Z25warp_store_guarded_kernelILj1024ELj4ELj32ELN7rocprim17ROCPRIM_304000_NS17warp_store_methodE1EiEvPT3_S4_i,comdat
	.protected	_Z25warp_store_guarded_kernelILj1024ELj4ELj32ELN7rocprim17ROCPRIM_304000_NS17warp_store_methodE1EiEvPT3_S4_i ; -- Begin function _Z25warp_store_guarded_kernelILj1024ELj4ELj32ELN7rocprim17ROCPRIM_304000_NS17warp_store_methodE1EiEvPT3_S4_i
	.globl	_Z25warp_store_guarded_kernelILj1024ELj4ELj32ELN7rocprim17ROCPRIM_304000_NS17warp_store_methodE1EiEvPT3_S4_i
	.p2align	8
	.type	_Z25warp_store_guarded_kernelILj1024ELj4ELj32ELN7rocprim17ROCPRIM_304000_NS17warp_store_methodE1EiEvPT3_S4_i,@function
_Z25warp_store_guarded_kernelILj1024ELj4ELj32ELN7rocprim17ROCPRIM_304000_NS17warp_store_methodE1EiEvPT3_S4_i: ; @_Z25warp_store_guarded_kernelILj1024ELj4ELj32ELN7rocprim17ROCPRIM_304000_NS17warp_store_methodE1EiEvPT3_S4_i
; %bb.0:
	s_load_dwordx4 s[0:3], s[4:5], 0x0
	s_load_dword s6, s[4:5], 0x10
	v_lshlrev_b32_e32 v6, 4, v0
	v_mbcnt_lo_u32_b32 v5, -1, 0
	v_and_b32_e32 v3, 0x3e00, v6
	s_waitcnt lgkmcnt(0)
	global_load_dwordx3 v[0:2], v6, s[0:1] offset:4
	v_mbcnt_hi_u32_b32 v5, -1, v5
	v_mov_b32_e32 v4, s3
	v_add_co_u32_e32 v3, vcc, s2, v3
	v_and_b32_e32 v5, 31, v5
	v_addc_co_u32_e32 v4, vcc, 0, v4, vcc
	v_lshlrev_b32_e32 v7, 2, v5
	v_add_co_u32_e32 v3, vcc, v3, v7
	v_addc_co_u32_e32 v4, vcc, 0, v4, vcc
	v_cmp_gt_u32_e32 vcc, s6, v5
	s_and_saveexec_b64 s[2:3], vcc
	s_cbranch_execz .LBB70_2
; %bb.1:
	v_mov_b32_e32 v7, s1
	v_add_co_u32_e32 v6, vcc, s0, v6
	v_addc_co_u32_e32 v7, vcc, 0, v7, vcc
	global_load_dword v6, v[6:7], off
	s_waitcnt vmcnt(0)
	global_store_dword v[3:4], v6, off
.LBB70_2:
	s_or_b64 exec, exec, s[2:3]
	v_or_b32_e32 v6, 32, v5
	v_cmp_gt_u32_e32 vcc, s6, v6
	s_and_saveexec_b64 s[0:1], vcc
	s_cbranch_execz .LBB70_4
; %bb.3:
	s_waitcnt vmcnt(0)
	global_store_dword v[3:4], v0, off offset:128
.LBB70_4:
	s_or_b64 exec, exec, s[0:1]
	s_waitcnt vmcnt(0)
	v_or_b32_e32 v0, 64, v5
	v_cmp_gt_u32_e32 vcc, s6, v0
	s_and_saveexec_b64 s[0:1], vcc
	s_cbranch_execz .LBB70_6
; %bb.5:
	global_store_dword v[3:4], v1, off offset:256
.LBB70_6:
	s_or_b64 exec, exec, s[0:1]
	v_or_b32_e32 v0, 0x60, v5
	v_cmp_gt_u32_e32 vcc, s6, v0
	s_and_saveexec_b64 s[0:1], vcc
	s_cbranch_execz .LBB70_8
; %bb.7:
	global_store_dword v[3:4], v2, off offset:384
.LBB70_8:
	s_endpgm
	.section	.rodata,"a",@progbits
	.p2align	6, 0x0
	.amdhsa_kernel _Z25warp_store_guarded_kernelILj1024ELj4ELj32ELN7rocprim17ROCPRIM_304000_NS17warp_store_methodE1EiEvPT3_S4_i
		.amdhsa_group_segment_fixed_size 0
		.amdhsa_private_segment_fixed_size 0
		.amdhsa_kernarg_size 20
		.amdhsa_user_sgpr_count 6
		.amdhsa_user_sgpr_private_segment_buffer 1
		.amdhsa_user_sgpr_dispatch_ptr 0
		.amdhsa_user_sgpr_queue_ptr 0
		.amdhsa_user_sgpr_kernarg_segment_ptr 1
		.amdhsa_user_sgpr_dispatch_id 0
		.amdhsa_user_sgpr_flat_scratch_init 0
		.amdhsa_user_sgpr_private_segment_size 0
		.amdhsa_uses_dynamic_stack 0
		.amdhsa_system_sgpr_private_segment_wavefront_offset 0
		.amdhsa_system_sgpr_workgroup_id_x 1
		.amdhsa_system_sgpr_workgroup_id_y 0
		.amdhsa_system_sgpr_workgroup_id_z 0
		.amdhsa_system_sgpr_workgroup_info 0
		.amdhsa_system_vgpr_workitem_id 0
		.amdhsa_next_free_vgpr 8
		.amdhsa_next_free_sgpr 7
		.amdhsa_reserve_vcc 1
		.amdhsa_reserve_flat_scratch 0
		.amdhsa_float_round_mode_32 0
		.amdhsa_float_round_mode_16_64 0
		.amdhsa_float_denorm_mode_32 3
		.amdhsa_float_denorm_mode_16_64 3
		.amdhsa_dx10_clamp 1
		.amdhsa_ieee_mode 1
		.amdhsa_fp16_overflow 0
		.amdhsa_exception_fp_ieee_invalid_op 0
		.amdhsa_exception_fp_denorm_src 0
		.amdhsa_exception_fp_ieee_div_zero 0
		.amdhsa_exception_fp_ieee_overflow 0
		.amdhsa_exception_fp_ieee_underflow 0
		.amdhsa_exception_fp_ieee_inexact 0
		.amdhsa_exception_int_div_zero 0
	.end_amdhsa_kernel
	.section	.text._Z25warp_store_guarded_kernelILj1024ELj4ELj32ELN7rocprim17ROCPRIM_304000_NS17warp_store_methodE1EiEvPT3_S4_i,"axG",@progbits,_Z25warp_store_guarded_kernelILj1024ELj4ELj32ELN7rocprim17ROCPRIM_304000_NS17warp_store_methodE1EiEvPT3_S4_i,comdat
.Lfunc_end70:
	.size	_Z25warp_store_guarded_kernelILj1024ELj4ELj32ELN7rocprim17ROCPRIM_304000_NS17warp_store_methodE1EiEvPT3_S4_i, .Lfunc_end70-_Z25warp_store_guarded_kernelILj1024ELj4ELj32ELN7rocprim17ROCPRIM_304000_NS17warp_store_methodE1EiEvPT3_S4_i
                                        ; -- End function
	.set _Z25warp_store_guarded_kernelILj1024ELj4ELj32ELN7rocprim17ROCPRIM_304000_NS17warp_store_methodE1EiEvPT3_S4_i.num_vgpr, 8
	.set _Z25warp_store_guarded_kernelILj1024ELj4ELj32ELN7rocprim17ROCPRIM_304000_NS17warp_store_methodE1EiEvPT3_S4_i.num_agpr, 0
	.set _Z25warp_store_guarded_kernelILj1024ELj4ELj32ELN7rocprim17ROCPRIM_304000_NS17warp_store_methodE1EiEvPT3_S4_i.numbered_sgpr, 7
	.set _Z25warp_store_guarded_kernelILj1024ELj4ELj32ELN7rocprim17ROCPRIM_304000_NS17warp_store_methodE1EiEvPT3_S4_i.num_named_barrier, 0
	.set _Z25warp_store_guarded_kernelILj1024ELj4ELj32ELN7rocprim17ROCPRIM_304000_NS17warp_store_methodE1EiEvPT3_S4_i.private_seg_size, 0
	.set _Z25warp_store_guarded_kernelILj1024ELj4ELj32ELN7rocprim17ROCPRIM_304000_NS17warp_store_methodE1EiEvPT3_S4_i.uses_vcc, 1
	.set _Z25warp_store_guarded_kernelILj1024ELj4ELj32ELN7rocprim17ROCPRIM_304000_NS17warp_store_methodE1EiEvPT3_S4_i.uses_flat_scratch, 0
	.set _Z25warp_store_guarded_kernelILj1024ELj4ELj32ELN7rocprim17ROCPRIM_304000_NS17warp_store_methodE1EiEvPT3_S4_i.has_dyn_sized_stack, 0
	.set _Z25warp_store_guarded_kernelILj1024ELj4ELj32ELN7rocprim17ROCPRIM_304000_NS17warp_store_methodE1EiEvPT3_S4_i.has_recursion, 0
	.set _Z25warp_store_guarded_kernelILj1024ELj4ELj32ELN7rocprim17ROCPRIM_304000_NS17warp_store_methodE1EiEvPT3_S4_i.has_indirect_call, 0
	.section	.AMDGPU.csdata,"",@progbits
; Kernel info:
; codeLenInByte = 228
; TotalNumSgprs: 11
; NumVgprs: 8
; ScratchSize: 0
; MemoryBound: 0
; FloatMode: 240
; IeeeMode: 1
; LDSByteSize: 0 bytes/workgroup (compile time only)
; SGPRBlocks: 1
; VGPRBlocks: 1
; NumSGPRsForWavesPerEU: 11
; NumVGPRsForWavesPerEU: 8
; Occupancy: 10
; WaveLimiterHint : 0
; COMPUTE_PGM_RSRC2:SCRATCH_EN: 0
; COMPUTE_PGM_RSRC2:USER_SGPR: 6
; COMPUTE_PGM_RSRC2:TRAP_HANDLER: 0
; COMPUTE_PGM_RSRC2:TGID_X_EN: 1
; COMPUTE_PGM_RSRC2:TGID_Y_EN: 0
; COMPUTE_PGM_RSRC2:TGID_Z_EN: 0
; COMPUTE_PGM_RSRC2:TIDIG_COMP_CNT: 0
	.section	.text._Z25warp_store_guarded_kernelILj1024ELj4ELj32ELN7rocprim17ROCPRIM_304000_NS17warp_store_methodE0EiEvPT3_S4_i,"axG",@progbits,_Z25warp_store_guarded_kernelILj1024ELj4ELj32ELN7rocprim17ROCPRIM_304000_NS17warp_store_methodE0EiEvPT3_S4_i,comdat
	.protected	_Z25warp_store_guarded_kernelILj1024ELj4ELj32ELN7rocprim17ROCPRIM_304000_NS17warp_store_methodE0EiEvPT3_S4_i ; -- Begin function _Z25warp_store_guarded_kernelILj1024ELj4ELj32ELN7rocprim17ROCPRIM_304000_NS17warp_store_methodE0EiEvPT3_S4_i
	.globl	_Z25warp_store_guarded_kernelILj1024ELj4ELj32ELN7rocprim17ROCPRIM_304000_NS17warp_store_methodE0EiEvPT3_S4_i
	.p2align	8
	.type	_Z25warp_store_guarded_kernelILj1024ELj4ELj32ELN7rocprim17ROCPRIM_304000_NS17warp_store_methodE0EiEvPT3_S4_i,@function
_Z25warp_store_guarded_kernelILj1024ELj4ELj32ELN7rocprim17ROCPRIM_304000_NS17warp_store_methodE0EiEvPT3_S4_i: ; @_Z25warp_store_guarded_kernelILj1024ELj4ELj32ELN7rocprim17ROCPRIM_304000_NS17warp_store_methodE0EiEvPT3_S4_i
; %bb.0:
	s_load_dwordx4 s[0:3], s[4:5], 0x0
	s_load_dword s6, s[4:5], 0x10
	v_lshlrev_b32_e32 v6, 4, v0
	v_mbcnt_lo_u32_b32 v5, -1, 0
	v_mbcnt_hi_u32_b32 v5, -1, v5
	s_waitcnt lgkmcnt(0)
	global_load_dwordx3 v[0:2], v6, s[0:1] offset:4
	v_and_b32_e32 v3, 0x3e00, v6
	v_lshlrev_b32_e32 v5, 2, v5
	v_mov_b32_e32 v4, s3
	v_add_co_u32_e32 v3, vcc, s2, v3
	v_and_b32_e32 v5, 0x7c, v5
	v_addc_co_u32_e32 v4, vcc, 0, v4, vcc
	v_lshlrev_b32_e32 v7, 2, v5
	v_add_co_u32_e32 v3, vcc, v3, v7
	v_addc_co_u32_e32 v4, vcc, 0, v4, vcc
	v_cmp_gt_u32_e32 vcc, s6, v5
	s_and_saveexec_b64 s[2:3], vcc
	s_cbranch_execz .LBB71_2
; %bb.1:
	v_mov_b32_e32 v7, s1
	v_add_co_u32_e32 v6, vcc, s0, v6
	v_addc_co_u32_e32 v7, vcc, 0, v7, vcc
	global_load_dword v6, v[6:7], off
	s_waitcnt vmcnt(0)
	global_store_dword v[3:4], v6, off
.LBB71_2:
	s_or_b64 exec, exec, s[2:3]
	v_or_b32_e32 v6, 1, v5
	v_cmp_gt_u32_e32 vcc, s6, v6
	s_and_saveexec_b64 s[0:1], vcc
	s_cbranch_execz .LBB71_4
; %bb.3:
	s_waitcnt vmcnt(0)
	global_store_dword v[3:4], v0, off offset:4
.LBB71_4:
	s_or_b64 exec, exec, s[0:1]
	s_waitcnt vmcnt(0)
	v_or_b32_e32 v0, 2, v5
	v_cmp_gt_u32_e32 vcc, s6, v0
	s_and_saveexec_b64 s[0:1], vcc
	s_cbranch_execz .LBB71_6
; %bb.5:
	global_store_dword v[3:4], v1, off offset:8
.LBB71_6:
	s_or_b64 exec, exec, s[0:1]
	v_or_b32_e32 v0, 3, v5
	v_cmp_gt_u32_e32 vcc, s6, v0
	s_and_saveexec_b64 s[0:1], vcc
	s_cbranch_execz .LBB71_8
; %bb.7:
	global_store_dword v[3:4], v2, off offset:12
.LBB71_8:
	s_endpgm
	.section	.rodata,"a",@progbits
	.p2align	6, 0x0
	.amdhsa_kernel _Z25warp_store_guarded_kernelILj1024ELj4ELj32ELN7rocprim17ROCPRIM_304000_NS17warp_store_methodE0EiEvPT3_S4_i
		.amdhsa_group_segment_fixed_size 0
		.amdhsa_private_segment_fixed_size 0
		.amdhsa_kernarg_size 20
		.amdhsa_user_sgpr_count 6
		.amdhsa_user_sgpr_private_segment_buffer 1
		.amdhsa_user_sgpr_dispatch_ptr 0
		.amdhsa_user_sgpr_queue_ptr 0
		.amdhsa_user_sgpr_kernarg_segment_ptr 1
		.amdhsa_user_sgpr_dispatch_id 0
		.amdhsa_user_sgpr_flat_scratch_init 0
		.amdhsa_user_sgpr_private_segment_size 0
		.amdhsa_uses_dynamic_stack 0
		.amdhsa_system_sgpr_private_segment_wavefront_offset 0
		.amdhsa_system_sgpr_workgroup_id_x 1
		.amdhsa_system_sgpr_workgroup_id_y 0
		.amdhsa_system_sgpr_workgroup_id_z 0
		.amdhsa_system_sgpr_workgroup_info 0
		.amdhsa_system_vgpr_workitem_id 0
		.amdhsa_next_free_vgpr 8
		.amdhsa_next_free_sgpr 7
		.amdhsa_reserve_vcc 1
		.amdhsa_reserve_flat_scratch 0
		.amdhsa_float_round_mode_32 0
		.amdhsa_float_round_mode_16_64 0
		.amdhsa_float_denorm_mode_32 3
		.amdhsa_float_denorm_mode_16_64 3
		.amdhsa_dx10_clamp 1
		.amdhsa_ieee_mode 1
		.amdhsa_fp16_overflow 0
		.amdhsa_exception_fp_ieee_invalid_op 0
		.amdhsa_exception_fp_denorm_src 0
		.amdhsa_exception_fp_ieee_div_zero 0
		.amdhsa_exception_fp_ieee_overflow 0
		.amdhsa_exception_fp_ieee_underflow 0
		.amdhsa_exception_fp_ieee_inexact 0
		.amdhsa_exception_int_div_zero 0
	.end_amdhsa_kernel
	.section	.text._Z25warp_store_guarded_kernelILj1024ELj4ELj32ELN7rocprim17ROCPRIM_304000_NS17warp_store_methodE0EiEvPT3_S4_i,"axG",@progbits,_Z25warp_store_guarded_kernelILj1024ELj4ELj32ELN7rocprim17ROCPRIM_304000_NS17warp_store_methodE0EiEvPT3_S4_i,comdat
.Lfunc_end71:
	.size	_Z25warp_store_guarded_kernelILj1024ELj4ELj32ELN7rocprim17ROCPRIM_304000_NS17warp_store_methodE0EiEvPT3_S4_i, .Lfunc_end71-_Z25warp_store_guarded_kernelILj1024ELj4ELj32ELN7rocprim17ROCPRIM_304000_NS17warp_store_methodE0EiEvPT3_S4_i
                                        ; -- End function
	.set _Z25warp_store_guarded_kernelILj1024ELj4ELj32ELN7rocprim17ROCPRIM_304000_NS17warp_store_methodE0EiEvPT3_S4_i.num_vgpr, 8
	.set _Z25warp_store_guarded_kernelILj1024ELj4ELj32ELN7rocprim17ROCPRIM_304000_NS17warp_store_methodE0EiEvPT3_S4_i.num_agpr, 0
	.set _Z25warp_store_guarded_kernelILj1024ELj4ELj32ELN7rocprim17ROCPRIM_304000_NS17warp_store_methodE0EiEvPT3_S4_i.numbered_sgpr, 7
	.set _Z25warp_store_guarded_kernelILj1024ELj4ELj32ELN7rocprim17ROCPRIM_304000_NS17warp_store_methodE0EiEvPT3_S4_i.num_named_barrier, 0
	.set _Z25warp_store_guarded_kernelILj1024ELj4ELj32ELN7rocprim17ROCPRIM_304000_NS17warp_store_methodE0EiEvPT3_S4_i.private_seg_size, 0
	.set _Z25warp_store_guarded_kernelILj1024ELj4ELj32ELN7rocprim17ROCPRIM_304000_NS17warp_store_methodE0EiEvPT3_S4_i.uses_vcc, 1
	.set _Z25warp_store_guarded_kernelILj1024ELj4ELj32ELN7rocprim17ROCPRIM_304000_NS17warp_store_methodE0EiEvPT3_S4_i.uses_flat_scratch, 0
	.set _Z25warp_store_guarded_kernelILj1024ELj4ELj32ELN7rocprim17ROCPRIM_304000_NS17warp_store_methodE0EiEvPT3_S4_i.has_dyn_sized_stack, 0
	.set _Z25warp_store_guarded_kernelILj1024ELj4ELj32ELN7rocprim17ROCPRIM_304000_NS17warp_store_methodE0EiEvPT3_S4_i.has_recursion, 0
	.set _Z25warp_store_guarded_kernelILj1024ELj4ELj32ELN7rocprim17ROCPRIM_304000_NS17warp_store_methodE0EiEvPT3_S4_i.has_indirect_call, 0
	.section	.AMDGPU.csdata,"",@progbits
; Kernel info:
; codeLenInByte = 232
; TotalNumSgprs: 11
; NumVgprs: 8
; ScratchSize: 0
; MemoryBound: 0
; FloatMode: 240
; IeeeMode: 1
; LDSByteSize: 0 bytes/workgroup (compile time only)
; SGPRBlocks: 1
; VGPRBlocks: 1
; NumSGPRsForWavesPerEU: 11
; NumVGPRsForWavesPerEU: 8
; Occupancy: 10
; WaveLimiterHint : 0
; COMPUTE_PGM_RSRC2:SCRATCH_EN: 0
; COMPUTE_PGM_RSRC2:USER_SGPR: 6
; COMPUTE_PGM_RSRC2:TRAP_HANDLER: 0
; COMPUTE_PGM_RSRC2:TGID_X_EN: 1
; COMPUTE_PGM_RSRC2:TGID_Y_EN: 0
; COMPUTE_PGM_RSRC2:TGID_Z_EN: 0
; COMPUTE_PGM_RSRC2:TIDIG_COMP_CNT: 0
	.section	.text._Z25warp_store_guarded_kernelILj1024ELj4ELj8ELN7rocprim17ROCPRIM_304000_NS17warp_store_methodE3EiEvPT3_S4_i,"axG",@progbits,_Z25warp_store_guarded_kernelILj1024ELj4ELj8ELN7rocprim17ROCPRIM_304000_NS17warp_store_methodE3EiEvPT3_S4_i,comdat
	.protected	_Z25warp_store_guarded_kernelILj1024ELj4ELj8ELN7rocprim17ROCPRIM_304000_NS17warp_store_methodE3EiEvPT3_S4_i ; -- Begin function _Z25warp_store_guarded_kernelILj1024ELj4ELj8ELN7rocprim17ROCPRIM_304000_NS17warp_store_methodE3EiEvPT3_S4_i
	.globl	_Z25warp_store_guarded_kernelILj1024ELj4ELj8ELN7rocprim17ROCPRIM_304000_NS17warp_store_methodE3EiEvPT3_S4_i
	.p2align	8
	.type	_Z25warp_store_guarded_kernelILj1024ELj4ELj8ELN7rocprim17ROCPRIM_304000_NS17warp_store_methodE3EiEvPT3_S4_i,@function
_Z25warp_store_guarded_kernelILj1024ELj4ELj8ELN7rocprim17ROCPRIM_304000_NS17warp_store_methodE3EiEvPT3_S4_i: ; @_Z25warp_store_guarded_kernelILj1024ELj4ELj8ELN7rocprim17ROCPRIM_304000_NS17warp_store_methodE3EiEvPT3_S4_i
; %bb.0:
	s_load_dwordx4 s[8:11], s[4:5], 0x0
	s_load_dword s2, s[4:5], 0x10
	v_lshlrev_b32_e32 v4, 4, v0
	v_mbcnt_lo_u32_b32 v5, -1, 0
	v_mbcnt_hi_u32_b32 v5, -1, v5
	s_waitcnt lgkmcnt(0)
	global_load_dwordx4 v[0:3], v4, s[8:9]
	v_and_b32_e32 v7, 0x3f80, v4
	v_and_b32_e32 v4, 7, v5
	v_lshl_or_b32 v6, v4, 4, v7
	v_mad_i32_i24 v5, v4, -12, v6
	v_mov_b32_e32 v9, s11
	v_add_co_u32_e32 v7, vcc, s10, v7
	v_lshlrev_b32_e32 v8, 2, v4
	v_addc_co_u32_e32 v9, vcc, 0, v9, vcc
	s_waitcnt vmcnt(0)
	ds_write_b128 v6, v[0:3]
	; wave barrier
	ds_read2_b32 v[2:3], v5 offset0:8 offset1:16
	ds_read_b32 v5, v5 offset:96
	v_add_co_u32_e32 v0, vcc, v7, v8
	v_addc_co_u32_e32 v1, vcc, 0, v9, vcc
	v_cmp_gt_u32_e32 vcc, s2, v4
	s_and_saveexec_b64 s[0:1], vcc
	s_cbranch_execz .LBB72_2
; %bb.1:
	v_mul_i32_i24_e32 v7, -12, v4
	v_add_u32_e32 v6, v6, v7
	ds_read_b32 v6, v6
	s_waitcnt lgkmcnt(0)
	global_store_dword v[0:1], v6, off
.LBB72_2:
	s_or_b64 exec, exec, s[0:1]
	v_or_b32_e32 v6, 8, v4
	v_cmp_gt_u32_e32 vcc, s2, v6
	s_and_saveexec_b64 s[0:1], vcc
	s_cbranch_execz .LBB72_4
; %bb.3:
	s_waitcnt lgkmcnt(1)
	global_store_dword v[0:1], v2, off offset:32
.LBB72_4:
	s_or_b64 exec, exec, s[0:1]
	s_waitcnt lgkmcnt(1)
	v_or_b32_e32 v2, 16, v4
	v_cmp_gt_u32_e32 vcc, s2, v2
	s_and_saveexec_b64 s[0:1], vcc
	s_cbranch_execz .LBB72_6
; %bb.5:
	global_store_dword v[0:1], v3, off offset:64
.LBB72_6:
	s_or_b64 exec, exec, s[0:1]
	v_or_b32_e32 v2, 24, v4
	v_cmp_gt_u32_e32 vcc, s2, v2
	s_and_saveexec_b64 s[0:1], vcc
	s_cbranch_execz .LBB72_8
; %bb.7:
	s_waitcnt lgkmcnt(0)
	global_store_dword v[0:1], v5, off offset:96
.LBB72_8:
	s_endpgm
	.section	.rodata,"a",@progbits
	.p2align	6, 0x0
	.amdhsa_kernel _Z25warp_store_guarded_kernelILj1024ELj4ELj8ELN7rocprim17ROCPRIM_304000_NS17warp_store_methodE3EiEvPT3_S4_i
		.amdhsa_group_segment_fixed_size 16384
		.amdhsa_private_segment_fixed_size 0
		.amdhsa_kernarg_size 20
		.amdhsa_user_sgpr_count 6
		.amdhsa_user_sgpr_private_segment_buffer 1
		.amdhsa_user_sgpr_dispatch_ptr 0
		.amdhsa_user_sgpr_queue_ptr 0
		.amdhsa_user_sgpr_kernarg_segment_ptr 1
		.amdhsa_user_sgpr_dispatch_id 0
		.amdhsa_user_sgpr_flat_scratch_init 0
		.amdhsa_user_sgpr_private_segment_size 0
		.amdhsa_uses_dynamic_stack 0
		.amdhsa_system_sgpr_private_segment_wavefront_offset 0
		.amdhsa_system_sgpr_workgroup_id_x 1
		.amdhsa_system_sgpr_workgroup_id_y 0
		.amdhsa_system_sgpr_workgroup_id_z 0
		.amdhsa_system_sgpr_workgroup_info 0
		.amdhsa_system_vgpr_workitem_id 0
		.amdhsa_next_free_vgpr 29
		.amdhsa_next_free_sgpr 61
		.amdhsa_reserve_vcc 1
		.amdhsa_reserve_flat_scratch 0
		.amdhsa_float_round_mode_32 0
		.amdhsa_float_round_mode_16_64 0
		.amdhsa_float_denorm_mode_32 3
		.amdhsa_float_denorm_mode_16_64 3
		.amdhsa_dx10_clamp 1
		.amdhsa_ieee_mode 1
		.amdhsa_fp16_overflow 0
		.amdhsa_exception_fp_ieee_invalid_op 0
		.amdhsa_exception_fp_denorm_src 0
		.amdhsa_exception_fp_ieee_div_zero 0
		.amdhsa_exception_fp_ieee_overflow 0
		.amdhsa_exception_fp_ieee_underflow 0
		.amdhsa_exception_fp_ieee_inexact 0
		.amdhsa_exception_int_div_zero 0
	.end_amdhsa_kernel
	.section	.text._Z25warp_store_guarded_kernelILj1024ELj4ELj8ELN7rocprim17ROCPRIM_304000_NS17warp_store_methodE3EiEvPT3_S4_i,"axG",@progbits,_Z25warp_store_guarded_kernelILj1024ELj4ELj8ELN7rocprim17ROCPRIM_304000_NS17warp_store_methodE3EiEvPT3_S4_i,comdat
.Lfunc_end72:
	.size	_Z25warp_store_guarded_kernelILj1024ELj4ELj8ELN7rocprim17ROCPRIM_304000_NS17warp_store_methodE3EiEvPT3_S4_i, .Lfunc_end72-_Z25warp_store_guarded_kernelILj1024ELj4ELj8ELN7rocprim17ROCPRIM_304000_NS17warp_store_methodE3EiEvPT3_S4_i
                                        ; -- End function
	.set _Z25warp_store_guarded_kernelILj1024ELj4ELj8ELN7rocprim17ROCPRIM_304000_NS17warp_store_methodE3EiEvPT3_S4_i.num_vgpr, 10
	.set _Z25warp_store_guarded_kernelILj1024ELj4ELj8ELN7rocprim17ROCPRIM_304000_NS17warp_store_methodE3EiEvPT3_S4_i.num_agpr, 0
	.set _Z25warp_store_guarded_kernelILj1024ELj4ELj8ELN7rocprim17ROCPRIM_304000_NS17warp_store_methodE3EiEvPT3_S4_i.numbered_sgpr, 12
	.set _Z25warp_store_guarded_kernelILj1024ELj4ELj8ELN7rocprim17ROCPRIM_304000_NS17warp_store_methodE3EiEvPT3_S4_i.num_named_barrier, 0
	.set _Z25warp_store_guarded_kernelILj1024ELj4ELj8ELN7rocprim17ROCPRIM_304000_NS17warp_store_methodE3EiEvPT3_S4_i.private_seg_size, 0
	.set _Z25warp_store_guarded_kernelILj1024ELj4ELj8ELN7rocprim17ROCPRIM_304000_NS17warp_store_methodE3EiEvPT3_S4_i.uses_vcc, 1
	.set _Z25warp_store_guarded_kernelILj1024ELj4ELj8ELN7rocprim17ROCPRIM_304000_NS17warp_store_methodE3EiEvPT3_S4_i.uses_flat_scratch, 0
	.set _Z25warp_store_guarded_kernelILj1024ELj4ELj8ELN7rocprim17ROCPRIM_304000_NS17warp_store_methodE3EiEvPT3_S4_i.has_dyn_sized_stack, 0
	.set _Z25warp_store_guarded_kernelILj1024ELj4ELj8ELN7rocprim17ROCPRIM_304000_NS17warp_store_methodE3EiEvPT3_S4_i.has_recursion, 0
	.set _Z25warp_store_guarded_kernelILj1024ELj4ELj8ELN7rocprim17ROCPRIM_304000_NS17warp_store_methodE3EiEvPT3_S4_i.has_indirect_call, 0
	.section	.AMDGPU.csdata,"",@progbits
; Kernel info:
; codeLenInByte = 268
; TotalNumSgprs: 16
; NumVgprs: 10
; ScratchSize: 0
; MemoryBound: 0
; FloatMode: 240
; IeeeMode: 1
; LDSByteSize: 16384 bytes/workgroup (compile time only)
; SGPRBlocks: 8
; VGPRBlocks: 7
; NumSGPRsForWavesPerEU: 65
; NumVGPRsForWavesPerEU: 29
; Occupancy: 8
; WaveLimiterHint : 0
; COMPUTE_PGM_RSRC2:SCRATCH_EN: 0
; COMPUTE_PGM_RSRC2:USER_SGPR: 6
; COMPUTE_PGM_RSRC2:TRAP_HANDLER: 0
; COMPUTE_PGM_RSRC2:TGID_X_EN: 1
; COMPUTE_PGM_RSRC2:TGID_Y_EN: 0
; COMPUTE_PGM_RSRC2:TGID_Z_EN: 0
; COMPUTE_PGM_RSRC2:TIDIG_COMP_CNT: 0
	.section	.text._Z25warp_store_guarded_kernelILj1024ELj4ELj8ELN7rocprim17ROCPRIM_304000_NS17warp_store_methodE2EiEvPT3_S4_i,"axG",@progbits,_Z25warp_store_guarded_kernelILj1024ELj4ELj8ELN7rocprim17ROCPRIM_304000_NS17warp_store_methodE2EiEvPT3_S4_i,comdat
	.protected	_Z25warp_store_guarded_kernelILj1024ELj4ELj8ELN7rocprim17ROCPRIM_304000_NS17warp_store_methodE2EiEvPT3_S4_i ; -- Begin function _Z25warp_store_guarded_kernelILj1024ELj4ELj8ELN7rocprim17ROCPRIM_304000_NS17warp_store_methodE2EiEvPT3_S4_i
	.globl	_Z25warp_store_guarded_kernelILj1024ELj4ELj8ELN7rocprim17ROCPRIM_304000_NS17warp_store_methodE2EiEvPT3_S4_i
	.p2align	8
	.type	_Z25warp_store_guarded_kernelILj1024ELj4ELj8ELN7rocprim17ROCPRIM_304000_NS17warp_store_methodE2EiEvPT3_S4_i,@function
_Z25warp_store_guarded_kernelILj1024ELj4ELj8ELN7rocprim17ROCPRIM_304000_NS17warp_store_methodE2EiEvPT3_S4_i: ; @_Z25warp_store_guarded_kernelILj1024ELj4ELj8ELN7rocprim17ROCPRIM_304000_NS17warp_store_methodE2EiEvPT3_S4_i
; %bb.0:
	s_load_dwordx4 s[0:3], s[4:5], 0x0
	s_load_dword s6, s[4:5], 0x10
	v_lshlrev_b32_e32 v6, 4, v0
	v_mbcnt_lo_u32_b32 v5, -1, 0
	v_mbcnt_hi_u32_b32 v5, -1, v5
	s_waitcnt lgkmcnt(0)
	global_load_dwordx3 v[0:2], v6, s[0:1] offset:4
	v_and_b32_e32 v3, 0x3f80, v6
	v_lshlrev_b32_e32 v5, 2, v5
	v_mov_b32_e32 v4, s3
	v_add_co_u32_e32 v3, vcc, s2, v3
	v_and_b32_e32 v5, 28, v5
	v_addc_co_u32_e32 v4, vcc, 0, v4, vcc
	v_lshlrev_b32_e32 v7, 2, v5
	v_add_co_u32_e32 v3, vcc, v3, v7
	v_addc_co_u32_e32 v4, vcc, 0, v4, vcc
	v_cmp_gt_u32_e32 vcc, s6, v5
	s_and_saveexec_b64 s[2:3], vcc
	s_cbranch_execz .LBB73_2
; %bb.1:
	v_mov_b32_e32 v7, s1
	v_add_co_u32_e32 v6, vcc, s0, v6
	v_addc_co_u32_e32 v7, vcc, 0, v7, vcc
	global_load_dword v6, v[6:7], off
	s_waitcnt vmcnt(0)
	global_store_dword v[3:4], v6, off
.LBB73_2:
	s_or_b64 exec, exec, s[2:3]
	v_or_b32_e32 v6, 1, v5
	v_cmp_gt_u32_e32 vcc, s6, v6
	s_and_saveexec_b64 s[0:1], vcc
	s_cbranch_execz .LBB73_4
; %bb.3:
	s_waitcnt vmcnt(0)
	global_store_dword v[3:4], v0, off offset:4
.LBB73_4:
	s_or_b64 exec, exec, s[0:1]
	s_waitcnt vmcnt(0)
	v_or_b32_e32 v0, 2, v5
	v_cmp_gt_u32_e32 vcc, s6, v0
	s_and_saveexec_b64 s[0:1], vcc
	s_cbranch_execz .LBB73_6
; %bb.5:
	global_store_dword v[3:4], v1, off offset:8
.LBB73_6:
	s_or_b64 exec, exec, s[0:1]
	v_or_b32_e32 v0, 3, v5
	v_cmp_gt_u32_e32 vcc, s6, v0
	s_and_saveexec_b64 s[0:1], vcc
	s_cbranch_execz .LBB73_8
; %bb.7:
	global_store_dword v[3:4], v2, off offset:12
.LBB73_8:
	s_endpgm
	.section	.rodata,"a",@progbits
	.p2align	6, 0x0
	.amdhsa_kernel _Z25warp_store_guarded_kernelILj1024ELj4ELj8ELN7rocprim17ROCPRIM_304000_NS17warp_store_methodE2EiEvPT3_S4_i
		.amdhsa_group_segment_fixed_size 0
		.amdhsa_private_segment_fixed_size 0
		.amdhsa_kernarg_size 20
		.amdhsa_user_sgpr_count 6
		.amdhsa_user_sgpr_private_segment_buffer 1
		.amdhsa_user_sgpr_dispatch_ptr 0
		.amdhsa_user_sgpr_queue_ptr 0
		.amdhsa_user_sgpr_kernarg_segment_ptr 1
		.amdhsa_user_sgpr_dispatch_id 0
		.amdhsa_user_sgpr_flat_scratch_init 0
		.amdhsa_user_sgpr_private_segment_size 0
		.amdhsa_uses_dynamic_stack 0
		.amdhsa_system_sgpr_private_segment_wavefront_offset 0
		.amdhsa_system_sgpr_workgroup_id_x 1
		.amdhsa_system_sgpr_workgroup_id_y 0
		.amdhsa_system_sgpr_workgroup_id_z 0
		.amdhsa_system_sgpr_workgroup_info 0
		.amdhsa_system_vgpr_workitem_id 0
		.amdhsa_next_free_vgpr 8
		.amdhsa_next_free_sgpr 7
		.amdhsa_reserve_vcc 1
		.amdhsa_reserve_flat_scratch 0
		.amdhsa_float_round_mode_32 0
		.amdhsa_float_round_mode_16_64 0
		.amdhsa_float_denorm_mode_32 3
		.amdhsa_float_denorm_mode_16_64 3
		.amdhsa_dx10_clamp 1
		.amdhsa_ieee_mode 1
		.amdhsa_fp16_overflow 0
		.amdhsa_exception_fp_ieee_invalid_op 0
		.amdhsa_exception_fp_denorm_src 0
		.amdhsa_exception_fp_ieee_div_zero 0
		.amdhsa_exception_fp_ieee_overflow 0
		.amdhsa_exception_fp_ieee_underflow 0
		.amdhsa_exception_fp_ieee_inexact 0
		.amdhsa_exception_int_div_zero 0
	.end_amdhsa_kernel
	.section	.text._Z25warp_store_guarded_kernelILj1024ELj4ELj8ELN7rocprim17ROCPRIM_304000_NS17warp_store_methodE2EiEvPT3_S4_i,"axG",@progbits,_Z25warp_store_guarded_kernelILj1024ELj4ELj8ELN7rocprim17ROCPRIM_304000_NS17warp_store_methodE2EiEvPT3_S4_i,comdat
.Lfunc_end73:
	.size	_Z25warp_store_guarded_kernelILj1024ELj4ELj8ELN7rocprim17ROCPRIM_304000_NS17warp_store_methodE2EiEvPT3_S4_i, .Lfunc_end73-_Z25warp_store_guarded_kernelILj1024ELj4ELj8ELN7rocprim17ROCPRIM_304000_NS17warp_store_methodE2EiEvPT3_S4_i
                                        ; -- End function
	.set _Z25warp_store_guarded_kernelILj1024ELj4ELj8ELN7rocprim17ROCPRIM_304000_NS17warp_store_methodE2EiEvPT3_S4_i.num_vgpr, 8
	.set _Z25warp_store_guarded_kernelILj1024ELj4ELj8ELN7rocprim17ROCPRIM_304000_NS17warp_store_methodE2EiEvPT3_S4_i.num_agpr, 0
	.set _Z25warp_store_guarded_kernelILj1024ELj4ELj8ELN7rocprim17ROCPRIM_304000_NS17warp_store_methodE2EiEvPT3_S4_i.numbered_sgpr, 7
	.set _Z25warp_store_guarded_kernelILj1024ELj4ELj8ELN7rocprim17ROCPRIM_304000_NS17warp_store_methodE2EiEvPT3_S4_i.num_named_barrier, 0
	.set _Z25warp_store_guarded_kernelILj1024ELj4ELj8ELN7rocprim17ROCPRIM_304000_NS17warp_store_methodE2EiEvPT3_S4_i.private_seg_size, 0
	.set _Z25warp_store_guarded_kernelILj1024ELj4ELj8ELN7rocprim17ROCPRIM_304000_NS17warp_store_methodE2EiEvPT3_S4_i.uses_vcc, 1
	.set _Z25warp_store_guarded_kernelILj1024ELj4ELj8ELN7rocprim17ROCPRIM_304000_NS17warp_store_methodE2EiEvPT3_S4_i.uses_flat_scratch, 0
	.set _Z25warp_store_guarded_kernelILj1024ELj4ELj8ELN7rocprim17ROCPRIM_304000_NS17warp_store_methodE2EiEvPT3_S4_i.has_dyn_sized_stack, 0
	.set _Z25warp_store_guarded_kernelILj1024ELj4ELj8ELN7rocprim17ROCPRIM_304000_NS17warp_store_methodE2EiEvPT3_S4_i.has_recursion, 0
	.set _Z25warp_store_guarded_kernelILj1024ELj4ELj8ELN7rocprim17ROCPRIM_304000_NS17warp_store_methodE2EiEvPT3_S4_i.has_indirect_call, 0
	.section	.AMDGPU.csdata,"",@progbits
; Kernel info:
; codeLenInByte = 228
; TotalNumSgprs: 11
; NumVgprs: 8
; ScratchSize: 0
; MemoryBound: 0
; FloatMode: 240
; IeeeMode: 1
; LDSByteSize: 0 bytes/workgroup (compile time only)
; SGPRBlocks: 1
; VGPRBlocks: 1
; NumSGPRsForWavesPerEU: 11
; NumVGPRsForWavesPerEU: 8
; Occupancy: 10
; WaveLimiterHint : 0
; COMPUTE_PGM_RSRC2:SCRATCH_EN: 0
; COMPUTE_PGM_RSRC2:USER_SGPR: 6
; COMPUTE_PGM_RSRC2:TRAP_HANDLER: 0
; COMPUTE_PGM_RSRC2:TGID_X_EN: 1
; COMPUTE_PGM_RSRC2:TGID_Y_EN: 0
; COMPUTE_PGM_RSRC2:TGID_Z_EN: 0
; COMPUTE_PGM_RSRC2:TIDIG_COMP_CNT: 0
	.section	.text._Z25warp_store_guarded_kernelILj1024ELj4ELj8ELN7rocprim17ROCPRIM_304000_NS17warp_store_methodE1EiEvPT3_S4_i,"axG",@progbits,_Z25warp_store_guarded_kernelILj1024ELj4ELj8ELN7rocprim17ROCPRIM_304000_NS17warp_store_methodE1EiEvPT3_S4_i,comdat
	.protected	_Z25warp_store_guarded_kernelILj1024ELj4ELj8ELN7rocprim17ROCPRIM_304000_NS17warp_store_methodE1EiEvPT3_S4_i ; -- Begin function _Z25warp_store_guarded_kernelILj1024ELj4ELj8ELN7rocprim17ROCPRIM_304000_NS17warp_store_methodE1EiEvPT3_S4_i
	.globl	_Z25warp_store_guarded_kernelILj1024ELj4ELj8ELN7rocprim17ROCPRIM_304000_NS17warp_store_methodE1EiEvPT3_S4_i
	.p2align	8
	.type	_Z25warp_store_guarded_kernelILj1024ELj4ELj8ELN7rocprim17ROCPRIM_304000_NS17warp_store_methodE1EiEvPT3_S4_i,@function
_Z25warp_store_guarded_kernelILj1024ELj4ELj8ELN7rocprim17ROCPRIM_304000_NS17warp_store_methodE1EiEvPT3_S4_i: ; @_Z25warp_store_guarded_kernelILj1024ELj4ELj8ELN7rocprim17ROCPRIM_304000_NS17warp_store_methodE1EiEvPT3_S4_i
; %bb.0:
	s_load_dwordx4 s[0:3], s[4:5], 0x0
	s_load_dword s6, s[4:5], 0x10
	v_lshlrev_b32_e32 v6, 4, v0
	v_mbcnt_lo_u32_b32 v5, -1, 0
	v_and_b32_e32 v3, 0x3f80, v6
	s_waitcnt lgkmcnt(0)
	global_load_dwordx3 v[0:2], v6, s[0:1] offset:4
	v_mbcnt_hi_u32_b32 v5, -1, v5
	v_mov_b32_e32 v4, s3
	v_add_co_u32_e32 v3, vcc, s2, v3
	v_and_b32_e32 v5, 7, v5
	v_addc_co_u32_e32 v4, vcc, 0, v4, vcc
	v_lshlrev_b32_e32 v7, 2, v5
	v_add_co_u32_e32 v3, vcc, v3, v7
	v_addc_co_u32_e32 v4, vcc, 0, v4, vcc
	v_cmp_gt_u32_e32 vcc, s6, v5
	s_and_saveexec_b64 s[2:3], vcc
	s_cbranch_execz .LBB74_2
; %bb.1:
	v_mov_b32_e32 v7, s1
	v_add_co_u32_e32 v6, vcc, s0, v6
	v_addc_co_u32_e32 v7, vcc, 0, v7, vcc
	global_load_dword v6, v[6:7], off
	s_waitcnt vmcnt(0)
	global_store_dword v[3:4], v6, off
.LBB74_2:
	s_or_b64 exec, exec, s[2:3]
	v_or_b32_e32 v6, 8, v5
	v_cmp_gt_u32_e32 vcc, s6, v6
	s_and_saveexec_b64 s[0:1], vcc
	s_cbranch_execz .LBB74_4
; %bb.3:
	s_waitcnt vmcnt(0)
	global_store_dword v[3:4], v0, off offset:32
.LBB74_4:
	s_or_b64 exec, exec, s[0:1]
	s_waitcnt vmcnt(0)
	v_or_b32_e32 v0, 16, v5
	v_cmp_gt_u32_e32 vcc, s6, v0
	s_and_saveexec_b64 s[0:1], vcc
	s_cbranch_execz .LBB74_6
; %bb.5:
	global_store_dword v[3:4], v1, off offset:64
.LBB74_6:
	s_or_b64 exec, exec, s[0:1]
	v_or_b32_e32 v0, 24, v5
	v_cmp_gt_u32_e32 vcc, s6, v0
	s_and_saveexec_b64 s[0:1], vcc
	s_cbranch_execz .LBB74_8
; %bb.7:
	global_store_dword v[3:4], v2, off offset:96
.LBB74_8:
	s_endpgm
	.section	.rodata,"a",@progbits
	.p2align	6, 0x0
	.amdhsa_kernel _Z25warp_store_guarded_kernelILj1024ELj4ELj8ELN7rocprim17ROCPRIM_304000_NS17warp_store_methodE1EiEvPT3_S4_i
		.amdhsa_group_segment_fixed_size 0
		.amdhsa_private_segment_fixed_size 0
		.amdhsa_kernarg_size 20
		.amdhsa_user_sgpr_count 6
		.amdhsa_user_sgpr_private_segment_buffer 1
		.amdhsa_user_sgpr_dispatch_ptr 0
		.amdhsa_user_sgpr_queue_ptr 0
		.amdhsa_user_sgpr_kernarg_segment_ptr 1
		.amdhsa_user_sgpr_dispatch_id 0
		.amdhsa_user_sgpr_flat_scratch_init 0
		.amdhsa_user_sgpr_private_segment_size 0
		.amdhsa_uses_dynamic_stack 0
		.amdhsa_system_sgpr_private_segment_wavefront_offset 0
		.amdhsa_system_sgpr_workgroup_id_x 1
		.amdhsa_system_sgpr_workgroup_id_y 0
		.amdhsa_system_sgpr_workgroup_id_z 0
		.amdhsa_system_sgpr_workgroup_info 0
		.amdhsa_system_vgpr_workitem_id 0
		.amdhsa_next_free_vgpr 8
		.amdhsa_next_free_sgpr 7
		.amdhsa_reserve_vcc 1
		.amdhsa_reserve_flat_scratch 0
		.amdhsa_float_round_mode_32 0
		.amdhsa_float_round_mode_16_64 0
		.amdhsa_float_denorm_mode_32 3
		.amdhsa_float_denorm_mode_16_64 3
		.amdhsa_dx10_clamp 1
		.amdhsa_ieee_mode 1
		.amdhsa_fp16_overflow 0
		.amdhsa_exception_fp_ieee_invalid_op 0
		.amdhsa_exception_fp_denorm_src 0
		.amdhsa_exception_fp_ieee_div_zero 0
		.amdhsa_exception_fp_ieee_overflow 0
		.amdhsa_exception_fp_ieee_underflow 0
		.amdhsa_exception_fp_ieee_inexact 0
		.amdhsa_exception_int_div_zero 0
	.end_amdhsa_kernel
	.section	.text._Z25warp_store_guarded_kernelILj1024ELj4ELj8ELN7rocprim17ROCPRIM_304000_NS17warp_store_methodE1EiEvPT3_S4_i,"axG",@progbits,_Z25warp_store_guarded_kernelILj1024ELj4ELj8ELN7rocprim17ROCPRIM_304000_NS17warp_store_methodE1EiEvPT3_S4_i,comdat
.Lfunc_end74:
	.size	_Z25warp_store_guarded_kernelILj1024ELj4ELj8ELN7rocprim17ROCPRIM_304000_NS17warp_store_methodE1EiEvPT3_S4_i, .Lfunc_end74-_Z25warp_store_guarded_kernelILj1024ELj4ELj8ELN7rocprim17ROCPRIM_304000_NS17warp_store_methodE1EiEvPT3_S4_i
                                        ; -- End function
	.set _Z25warp_store_guarded_kernelILj1024ELj4ELj8ELN7rocprim17ROCPRIM_304000_NS17warp_store_methodE1EiEvPT3_S4_i.num_vgpr, 8
	.set _Z25warp_store_guarded_kernelILj1024ELj4ELj8ELN7rocprim17ROCPRIM_304000_NS17warp_store_methodE1EiEvPT3_S4_i.num_agpr, 0
	.set _Z25warp_store_guarded_kernelILj1024ELj4ELj8ELN7rocprim17ROCPRIM_304000_NS17warp_store_methodE1EiEvPT3_S4_i.numbered_sgpr, 7
	.set _Z25warp_store_guarded_kernelILj1024ELj4ELj8ELN7rocprim17ROCPRIM_304000_NS17warp_store_methodE1EiEvPT3_S4_i.num_named_barrier, 0
	.set _Z25warp_store_guarded_kernelILj1024ELj4ELj8ELN7rocprim17ROCPRIM_304000_NS17warp_store_methodE1EiEvPT3_S4_i.private_seg_size, 0
	.set _Z25warp_store_guarded_kernelILj1024ELj4ELj8ELN7rocprim17ROCPRIM_304000_NS17warp_store_methodE1EiEvPT3_S4_i.uses_vcc, 1
	.set _Z25warp_store_guarded_kernelILj1024ELj4ELj8ELN7rocprim17ROCPRIM_304000_NS17warp_store_methodE1EiEvPT3_S4_i.uses_flat_scratch, 0
	.set _Z25warp_store_guarded_kernelILj1024ELj4ELj8ELN7rocprim17ROCPRIM_304000_NS17warp_store_methodE1EiEvPT3_S4_i.has_dyn_sized_stack, 0
	.set _Z25warp_store_guarded_kernelILj1024ELj4ELj8ELN7rocprim17ROCPRIM_304000_NS17warp_store_methodE1EiEvPT3_S4_i.has_recursion, 0
	.set _Z25warp_store_guarded_kernelILj1024ELj4ELj8ELN7rocprim17ROCPRIM_304000_NS17warp_store_methodE1EiEvPT3_S4_i.has_indirect_call, 0
	.section	.AMDGPU.csdata,"",@progbits
; Kernel info:
; codeLenInByte = 224
; TotalNumSgprs: 11
; NumVgprs: 8
; ScratchSize: 0
; MemoryBound: 0
; FloatMode: 240
; IeeeMode: 1
; LDSByteSize: 0 bytes/workgroup (compile time only)
; SGPRBlocks: 1
; VGPRBlocks: 1
; NumSGPRsForWavesPerEU: 11
; NumVGPRsForWavesPerEU: 8
; Occupancy: 10
; WaveLimiterHint : 0
; COMPUTE_PGM_RSRC2:SCRATCH_EN: 0
; COMPUTE_PGM_RSRC2:USER_SGPR: 6
; COMPUTE_PGM_RSRC2:TRAP_HANDLER: 0
; COMPUTE_PGM_RSRC2:TGID_X_EN: 1
; COMPUTE_PGM_RSRC2:TGID_Y_EN: 0
; COMPUTE_PGM_RSRC2:TGID_Z_EN: 0
; COMPUTE_PGM_RSRC2:TIDIG_COMP_CNT: 0
	.section	.text._Z25warp_store_guarded_kernelILj1024ELj4ELj8ELN7rocprim17ROCPRIM_304000_NS17warp_store_methodE0EiEvPT3_S4_i,"axG",@progbits,_Z25warp_store_guarded_kernelILj1024ELj4ELj8ELN7rocprim17ROCPRIM_304000_NS17warp_store_methodE0EiEvPT3_S4_i,comdat
	.protected	_Z25warp_store_guarded_kernelILj1024ELj4ELj8ELN7rocprim17ROCPRIM_304000_NS17warp_store_methodE0EiEvPT3_S4_i ; -- Begin function _Z25warp_store_guarded_kernelILj1024ELj4ELj8ELN7rocprim17ROCPRIM_304000_NS17warp_store_methodE0EiEvPT3_S4_i
	.globl	_Z25warp_store_guarded_kernelILj1024ELj4ELj8ELN7rocprim17ROCPRIM_304000_NS17warp_store_methodE0EiEvPT3_S4_i
	.p2align	8
	.type	_Z25warp_store_guarded_kernelILj1024ELj4ELj8ELN7rocprim17ROCPRIM_304000_NS17warp_store_methodE0EiEvPT3_S4_i,@function
_Z25warp_store_guarded_kernelILj1024ELj4ELj8ELN7rocprim17ROCPRIM_304000_NS17warp_store_methodE0EiEvPT3_S4_i: ; @_Z25warp_store_guarded_kernelILj1024ELj4ELj8ELN7rocprim17ROCPRIM_304000_NS17warp_store_methodE0EiEvPT3_S4_i
; %bb.0:
	s_load_dwordx4 s[0:3], s[4:5], 0x0
	s_load_dword s6, s[4:5], 0x10
	v_lshlrev_b32_e32 v6, 4, v0
	v_mbcnt_lo_u32_b32 v5, -1, 0
	v_mbcnt_hi_u32_b32 v5, -1, v5
	s_waitcnt lgkmcnt(0)
	global_load_dwordx3 v[0:2], v6, s[0:1] offset:4
	v_and_b32_e32 v3, 0x3f80, v6
	v_lshlrev_b32_e32 v5, 2, v5
	v_mov_b32_e32 v4, s3
	v_add_co_u32_e32 v3, vcc, s2, v3
	v_and_b32_e32 v5, 28, v5
	v_addc_co_u32_e32 v4, vcc, 0, v4, vcc
	v_lshlrev_b32_e32 v7, 2, v5
	v_add_co_u32_e32 v3, vcc, v3, v7
	v_addc_co_u32_e32 v4, vcc, 0, v4, vcc
	v_cmp_gt_u32_e32 vcc, s6, v5
	s_and_saveexec_b64 s[2:3], vcc
	s_cbranch_execz .LBB75_2
; %bb.1:
	v_mov_b32_e32 v7, s1
	v_add_co_u32_e32 v6, vcc, s0, v6
	v_addc_co_u32_e32 v7, vcc, 0, v7, vcc
	global_load_dword v6, v[6:7], off
	s_waitcnt vmcnt(0)
	global_store_dword v[3:4], v6, off
.LBB75_2:
	s_or_b64 exec, exec, s[2:3]
	v_or_b32_e32 v6, 1, v5
	v_cmp_gt_u32_e32 vcc, s6, v6
	s_and_saveexec_b64 s[0:1], vcc
	s_cbranch_execz .LBB75_4
; %bb.3:
	s_waitcnt vmcnt(0)
	global_store_dword v[3:4], v0, off offset:4
.LBB75_4:
	s_or_b64 exec, exec, s[0:1]
	s_waitcnt vmcnt(0)
	v_or_b32_e32 v0, 2, v5
	v_cmp_gt_u32_e32 vcc, s6, v0
	s_and_saveexec_b64 s[0:1], vcc
	s_cbranch_execz .LBB75_6
; %bb.5:
	global_store_dword v[3:4], v1, off offset:8
.LBB75_6:
	s_or_b64 exec, exec, s[0:1]
	v_or_b32_e32 v0, 3, v5
	v_cmp_gt_u32_e32 vcc, s6, v0
	s_and_saveexec_b64 s[0:1], vcc
	s_cbranch_execz .LBB75_8
; %bb.7:
	global_store_dword v[3:4], v2, off offset:12
.LBB75_8:
	s_endpgm
	.section	.rodata,"a",@progbits
	.p2align	6, 0x0
	.amdhsa_kernel _Z25warp_store_guarded_kernelILj1024ELj4ELj8ELN7rocprim17ROCPRIM_304000_NS17warp_store_methodE0EiEvPT3_S4_i
		.amdhsa_group_segment_fixed_size 0
		.amdhsa_private_segment_fixed_size 0
		.amdhsa_kernarg_size 20
		.amdhsa_user_sgpr_count 6
		.amdhsa_user_sgpr_private_segment_buffer 1
		.amdhsa_user_sgpr_dispatch_ptr 0
		.amdhsa_user_sgpr_queue_ptr 0
		.amdhsa_user_sgpr_kernarg_segment_ptr 1
		.amdhsa_user_sgpr_dispatch_id 0
		.amdhsa_user_sgpr_flat_scratch_init 0
		.amdhsa_user_sgpr_private_segment_size 0
		.amdhsa_uses_dynamic_stack 0
		.amdhsa_system_sgpr_private_segment_wavefront_offset 0
		.amdhsa_system_sgpr_workgroup_id_x 1
		.amdhsa_system_sgpr_workgroup_id_y 0
		.amdhsa_system_sgpr_workgroup_id_z 0
		.amdhsa_system_sgpr_workgroup_info 0
		.amdhsa_system_vgpr_workitem_id 0
		.amdhsa_next_free_vgpr 8
		.amdhsa_next_free_sgpr 7
		.amdhsa_reserve_vcc 1
		.amdhsa_reserve_flat_scratch 0
		.amdhsa_float_round_mode_32 0
		.amdhsa_float_round_mode_16_64 0
		.amdhsa_float_denorm_mode_32 3
		.amdhsa_float_denorm_mode_16_64 3
		.amdhsa_dx10_clamp 1
		.amdhsa_ieee_mode 1
		.amdhsa_fp16_overflow 0
		.amdhsa_exception_fp_ieee_invalid_op 0
		.amdhsa_exception_fp_denorm_src 0
		.amdhsa_exception_fp_ieee_div_zero 0
		.amdhsa_exception_fp_ieee_overflow 0
		.amdhsa_exception_fp_ieee_underflow 0
		.amdhsa_exception_fp_ieee_inexact 0
		.amdhsa_exception_int_div_zero 0
	.end_amdhsa_kernel
	.section	.text._Z25warp_store_guarded_kernelILj1024ELj4ELj8ELN7rocprim17ROCPRIM_304000_NS17warp_store_methodE0EiEvPT3_S4_i,"axG",@progbits,_Z25warp_store_guarded_kernelILj1024ELj4ELj8ELN7rocprim17ROCPRIM_304000_NS17warp_store_methodE0EiEvPT3_S4_i,comdat
.Lfunc_end75:
	.size	_Z25warp_store_guarded_kernelILj1024ELj4ELj8ELN7rocprim17ROCPRIM_304000_NS17warp_store_methodE0EiEvPT3_S4_i, .Lfunc_end75-_Z25warp_store_guarded_kernelILj1024ELj4ELj8ELN7rocprim17ROCPRIM_304000_NS17warp_store_methodE0EiEvPT3_S4_i
                                        ; -- End function
	.set _Z25warp_store_guarded_kernelILj1024ELj4ELj8ELN7rocprim17ROCPRIM_304000_NS17warp_store_methodE0EiEvPT3_S4_i.num_vgpr, 8
	.set _Z25warp_store_guarded_kernelILj1024ELj4ELj8ELN7rocprim17ROCPRIM_304000_NS17warp_store_methodE0EiEvPT3_S4_i.num_agpr, 0
	.set _Z25warp_store_guarded_kernelILj1024ELj4ELj8ELN7rocprim17ROCPRIM_304000_NS17warp_store_methodE0EiEvPT3_S4_i.numbered_sgpr, 7
	.set _Z25warp_store_guarded_kernelILj1024ELj4ELj8ELN7rocprim17ROCPRIM_304000_NS17warp_store_methodE0EiEvPT3_S4_i.num_named_barrier, 0
	.set _Z25warp_store_guarded_kernelILj1024ELj4ELj8ELN7rocprim17ROCPRIM_304000_NS17warp_store_methodE0EiEvPT3_S4_i.private_seg_size, 0
	.set _Z25warp_store_guarded_kernelILj1024ELj4ELj8ELN7rocprim17ROCPRIM_304000_NS17warp_store_methodE0EiEvPT3_S4_i.uses_vcc, 1
	.set _Z25warp_store_guarded_kernelILj1024ELj4ELj8ELN7rocprim17ROCPRIM_304000_NS17warp_store_methodE0EiEvPT3_S4_i.uses_flat_scratch, 0
	.set _Z25warp_store_guarded_kernelILj1024ELj4ELj8ELN7rocprim17ROCPRIM_304000_NS17warp_store_methodE0EiEvPT3_S4_i.has_dyn_sized_stack, 0
	.set _Z25warp_store_guarded_kernelILj1024ELj4ELj8ELN7rocprim17ROCPRIM_304000_NS17warp_store_methodE0EiEvPT3_S4_i.has_recursion, 0
	.set _Z25warp_store_guarded_kernelILj1024ELj4ELj8ELN7rocprim17ROCPRIM_304000_NS17warp_store_methodE0EiEvPT3_S4_i.has_indirect_call, 0
	.section	.AMDGPU.csdata,"",@progbits
; Kernel info:
; codeLenInByte = 228
; TotalNumSgprs: 11
; NumVgprs: 8
; ScratchSize: 0
; MemoryBound: 0
; FloatMode: 240
; IeeeMode: 1
; LDSByteSize: 0 bytes/workgroup (compile time only)
; SGPRBlocks: 1
; VGPRBlocks: 1
; NumSGPRsForWavesPerEU: 11
; NumVGPRsForWavesPerEU: 8
; Occupancy: 10
; WaveLimiterHint : 0
; COMPUTE_PGM_RSRC2:SCRATCH_EN: 0
; COMPUTE_PGM_RSRC2:USER_SGPR: 6
; COMPUTE_PGM_RSRC2:TRAP_HANDLER: 0
; COMPUTE_PGM_RSRC2:TGID_X_EN: 1
; COMPUTE_PGM_RSRC2:TGID_Y_EN: 0
; COMPUTE_PGM_RSRC2:TGID_Z_EN: 0
; COMPUTE_PGM_RSRC2:TIDIG_COMP_CNT: 0
	.section	.AMDGPU.gpr_maximums,"",@progbits
	.set amdgpu.max_num_vgpr, 0
	.set amdgpu.max_num_agpr, 0
	.set amdgpu.max_num_sgpr, 0
	.section	.AMDGPU.csdata,"",@progbits
	.type	__hip_cuid_8da6a02f5d345169,@object ; @__hip_cuid_8da6a02f5d345169
	.section	.bss,"aw",@nobits
	.globl	__hip_cuid_8da6a02f5d345169
__hip_cuid_8da6a02f5d345169:
	.byte	0                               ; 0x0
	.size	__hip_cuid_8da6a02f5d345169, 1

	.ident	"AMD clang version 22.0.0git (https://github.com/RadeonOpenCompute/llvm-project roc-7.2.4 26084 f58b06dce1f9c15707c5f808fd002e18c2accf7e)"
	.section	".note.GNU-stack","",@progbits
	.addrsig
	.addrsig_sym __hip_cuid_8da6a02f5d345169
	.amdgpu_metadata
---
amdhsa.kernels:
  - .args:
      - .address_space:  global
        .offset:         0
        .size:           8
        .value_kind:     global_buffer
      - .address_space:  global
        .offset:         8
        .size:           8
        .value_kind:     global_buffer
    .group_segment_fixed_size: 8192
    .kernarg_segment_align: 8
    .kernarg_segment_size: 16
    .language:       OpenCL C
    .language_version:
      - 2
      - 0
    .max_flat_workgroup_size: 1024
    .name:           _Z17warp_store_kernelILj1024ELj4ELj1ELN7rocprim17ROCPRIM_304000_NS17warp_store_methodE3E12hip_bfloat16EvPT3_S5_
    .private_segment_fixed_size: 0
    .sgpr_count:     10
    .sgpr_spill_count: 0
    .symbol:         _Z17warp_store_kernelILj1024ELj4ELj1ELN7rocprim17ROCPRIM_304000_NS17warp_store_methodE3E12hip_bfloat16EvPT3_S5_.kd
    .uniform_work_group_size: 1
    .uses_dynamic_stack: false
    .vgpr_count:     3
    .vgpr_spill_count: 0
    .wavefront_size: 64
  - .args:
      - .address_space:  global
        .offset:         0
        .size:           8
        .value_kind:     global_buffer
      - .address_space:  global
        .offset:         8
        .size:           8
        .value_kind:     global_buffer
    .group_segment_fixed_size: 0
    .kernarg_segment_align: 8
    .kernarg_segment_size: 16
    .language:       OpenCL C
    .language_version:
      - 2
      - 0
    .max_flat_workgroup_size: 1024
    .name:           _Z17warp_store_kernelILj1024ELj4ELj1ELN7rocprim17ROCPRIM_304000_NS17warp_store_methodE2E12hip_bfloat16EvPT3_S5_
    .private_segment_fixed_size: 0
    .sgpr_count:     10
    .sgpr_spill_count: 0
    .symbol:         _Z17warp_store_kernelILj1024ELj4ELj1ELN7rocprim17ROCPRIM_304000_NS17warp_store_methodE2E12hip_bfloat16EvPT3_S5_.kd
    .uniform_work_group_size: 1
    .uses_dynamic_stack: false
    .vgpr_count:     3
    .vgpr_spill_count: 0
    .wavefront_size: 64
  - .args:
      - .address_space:  global
        .offset:         0
        .size:           8
        .value_kind:     global_buffer
      - .address_space:  global
        .offset:         8
        .size:           8
        .value_kind:     global_buffer
    .group_segment_fixed_size: 0
    .kernarg_segment_align: 8
    .kernarg_segment_size: 16
    .language:       OpenCL C
    .language_version:
      - 2
      - 0
    .max_flat_workgroup_size: 1024
    .name:           _Z17warp_store_kernelILj1024ELj4ELj1ELN7rocprim17ROCPRIM_304000_NS17warp_store_methodE1E12hip_bfloat16EvPT3_S5_
    .private_segment_fixed_size: 0
    .sgpr_count:     10
    .sgpr_spill_count: 0
    .symbol:         _Z17warp_store_kernelILj1024ELj4ELj1ELN7rocprim17ROCPRIM_304000_NS17warp_store_methodE1E12hip_bfloat16EvPT3_S5_.kd
    .uniform_work_group_size: 1
    .uses_dynamic_stack: false
    .vgpr_count:     3
    .vgpr_spill_count: 0
    .wavefront_size: 64
  - .args:
      - .address_space:  global
        .offset:         0
        .size:           8
        .value_kind:     global_buffer
      - .address_space:  global
        .offset:         8
        .size:           8
        .value_kind:     global_buffer
    .group_segment_fixed_size: 0
    .kernarg_segment_align: 8
    .kernarg_segment_size: 16
    .language:       OpenCL C
    .language_version:
      - 2
      - 0
    .max_flat_workgroup_size: 1024
    .name:           _Z17warp_store_kernelILj1024ELj4ELj1ELN7rocprim17ROCPRIM_304000_NS17warp_store_methodE0E12hip_bfloat16EvPT3_S5_
    .private_segment_fixed_size: 0
    .sgpr_count:     10
    .sgpr_spill_count: 0
    .symbol:         _Z17warp_store_kernelILj1024ELj4ELj1ELN7rocprim17ROCPRIM_304000_NS17warp_store_methodE0E12hip_bfloat16EvPT3_S5_.kd
    .uniform_work_group_size: 1
    .uses_dynamic_stack: false
    .vgpr_count:     3
    .vgpr_spill_count: 0
    .wavefront_size: 64
  - .args:
      - .address_space:  global
        .offset:         0
        .size:           8
        .value_kind:     global_buffer
      - .address_space:  global
        .offset:         8
        .size:           8
        .value_kind:     global_buffer
    .group_segment_fixed_size: 32768
    .kernarg_segment_align: 8
    .kernarg_segment_size: 16
    .language:       OpenCL C
    .language_version:
      - 2
      - 0
    .max_flat_workgroup_size: 1024
    .name:           _Z17warp_store_kernelILj1024ELj4ELj1ELN7rocprim17ROCPRIM_304000_NS17warp_store_methodE3EdEvPT3_S4_
    .private_segment_fixed_size: 0
    .sgpr_count:     10
    .sgpr_spill_count: 0
    .symbol:         _Z17warp_store_kernelILj1024ELj4ELj1ELN7rocprim17ROCPRIM_304000_NS17warp_store_methodE3EdEvPT3_S4_.kd
    .uniform_work_group_size: 1
    .uses_dynamic_stack: false
    .vgpr_count:     9
    .vgpr_spill_count: 0
    .wavefront_size: 64
  - .args:
      - .address_space:  global
        .offset:         0
        .size:           8
        .value_kind:     global_buffer
      - .address_space:  global
        .offset:         8
        .size:           8
        .value_kind:     global_buffer
    .group_segment_fixed_size: 0
    .kernarg_segment_align: 8
    .kernarg_segment_size: 16
    .language:       OpenCL C
    .language_version:
      - 2
      - 0
    .max_flat_workgroup_size: 1024
    .name:           _Z17warp_store_kernelILj1024ELj4ELj1ELN7rocprim17ROCPRIM_304000_NS17warp_store_methodE2EdEvPT3_S4_
    .private_segment_fixed_size: 0
    .sgpr_count:     10
    .sgpr_spill_count: 0
    .symbol:         _Z17warp_store_kernelILj1024ELj4ELj1ELN7rocprim17ROCPRIM_304000_NS17warp_store_methodE2EdEvPT3_S4_.kd
    .uniform_work_group_size: 1
    .uses_dynamic_stack: false
    .vgpr_count:     9
    .vgpr_spill_count: 0
    .wavefront_size: 64
  - .args:
      - .address_space:  global
        .offset:         0
        .size:           8
        .value_kind:     global_buffer
      - .address_space:  global
        .offset:         8
        .size:           8
        .value_kind:     global_buffer
    .group_segment_fixed_size: 0
    .kernarg_segment_align: 8
    .kernarg_segment_size: 16
    .language:       OpenCL C
    .language_version:
      - 2
      - 0
    .max_flat_workgroup_size: 1024
    .name:           _Z17warp_store_kernelILj1024ELj4ELj1ELN7rocprim17ROCPRIM_304000_NS17warp_store_methodE1EdEvPT3_S4_
    .private_segment_fixed_size: 0
    .sgpr_count:     10
    .sgpr_spill_count: 0
    .symbol:         _Z17warp_store_kernelILj1024ELj4ELj1ELN7rocprim17ROCPRIM_304000_NS17warp_store_methodE1EdEvPT3_S4_.kd
    .uniform_work_group_size: 1
    .uses_dynamic_stack: false
    .vgpr_count:     9
    .vgpr_spill_count: 0
    .wavefront_size: 64
  - .args:
      - .address_space:  global
        .offset:         0
        .size:           8
        .value_kind:     global_buffer
      - .address_space:  global
        .offset:         8
        .size:           8
        .value_kind:     global_buffer
    .group_segment_fixed_size: 0
    .kernarg_segment_align: 8
    .kernarg_segment_size: 16
    .language:       OpenCL C
    .language_version:
      - 2
      - 0
    .max_flat_workgroup_size: 1024
    .name:           _Z17warp_store_kernelILj1024ELj4ELj1ELN7rocprim17ROCPRIM_304000_NS17warp_store_methodE0EdEvPT3_S4_
    .private_segment_fixed_size: 0
    .sgpr_count:     10
    .sgpr_spill_count: 0
    .symbol:         _Z17warp_store_kernelILj1024ELj4ELj1ELN7rocprim17ROCPRIM_304000_NS17warp_store_methodE0EdEvPT3_S4_.kd
    .uniform_work_group_size: 1
    .uses_dynamic_stack: false
    .vgpr_count:     9
    .vgpr_spill_count: 0
    .wavefront_size: 64
  - .args:
      - .address_space:  global
        .offset:         0
        .size:           8
        .value_kind:     global_buffer
      - .address_space:  global
        .offset:         8
        .size:           8
        .value_kind:     global_buffer
    .group_segment_fixed_size: 16384
    .kernarg_segment_align: 8
    .kernarg_segment_size: 16
    .language:       OpenCL C
    .language_version:
      - 2
      - 0
    .max_flat_workgroup_size: 1024
    .name:           _Z17warp_store_kernelILj1024ELj4ELj1ELN7rocprim17ROCPRIM_304000_NS17warp_store_methodE3EfEvPT3_S4_
    .private_segment_fixed_size: 0
    .sgpr_count:     10
    .sgpr_spill_count: 0
    .symbol:         _Z17warp_store_kernelILj1024ELj4ELj1ELN7rocprim17ROCPRIM_304000_NS17warp_store_methodE3EfEvPT3_S4_.kd
    .uniform_work_group_size: 1
    .uses_dynamic_stack: false
    .vgpr_count:     5
    .vgpr_spill_count: 0
    .wavefront_size: 64
  - .args:
      - .address_space:  global
        .offset:         0
        .size:           8
        .value_kind:     global_buffer
      - .address_space:  global
        .offset:         8
        .size:           8
        .value_kind:     global_buffer
    .group_segment_fixed_size: 0
    .kernarg_segment_align: 8
    .kernarg_segment_size: 16
    .language:       OpenCL C
    .language_version:
      - 2
      - 0
    .max_flat_workgroup_size: 1024
    .name:           _Z17warp_store_kernelILj1024ELj4ELj1ELN7rocprim17ROCPRIM_304000_NS17warp_store_methodE2EfEvPT3_S4_
    .private_segment_fixed_size: 0
    .sgpr_count:     10
    .sgpr_spill_count: 0
    .symbol:         _Z17warp_store_kernelILj1024ELj4ELj1ELN7rocprim17ROCPRIM_304000_NS17warp_store_methodE2EfEvPT3_S4_.kd
    .uniform_work_group_size: 1
    .uses_dynamic_stack: false
    .vgpr_count:     5
    .vgpr_spill_count: 0
    .wavefront_size: 64
  - .args:
      - .address_space:  global
        .offset:         0
        .size:           8
        .value_kind:     global_buffer
      - .address_space:  global
        .offset:         8
        .size:           8
        .value_kind:     global_buffer
    .group_segment_fixed_size: 0
    .kernarg_segment_align: 8
    .kernarg_segment_size: 16
    .language:       OpenCL C
    .language_version:
      - 2
      - 0
    .max_flat_workgroup_size: 1024
    .name:           _Z17warp_store_kernelILj1024ELj4ELj1ELN7rocprim17ROCPRIM_304000_NS17warp_store_methodE1EfEvPT3_S4_
    .private_segment_fixed_size: 0
    .sgpr_count:     10
    .sgpr_spill_count: 0
    .symbol:         _Z17warp_store_kernelILj1024ELj4ELj1ELN7rocprim17ROCPRIM_304000_NS17warp_store_methodE1EfEvPT3_S4_.kd
    .uniform_work_group_size: 1
    .uses_dynamic_stack: false
    .vgpr_count:     5
    .vgpr_spill_count: 0
    .wavefront_size: 64
  - .args:
      - .address_space:  global
        .offset:         0
        .size:           8
        .value_kind:     global_buffer
      - .address_space:  global
        .offset:         8
        .size:           8
        .value_kind:     global_buffer
    .group_segment_fixed_size: 0
    .kernarg_segment_align: 8
    .kernarg_segment_size: 16
    .language:       OpenCL C
    .language_version:
      - 2
      - 0
    .max_flat_workgroup_size: 1024
    .name:           _Z17warp_store_kernelILj1024ELj4ELj1ELN7rocprim17ROCPRIM_304000_NS17warp_store_methodE0EfEvPT3_S4_
    .private_segment_fixed_size: 0
    .sgpr_count:     10
    .sgpr_spill_count: 0
    .symbol:         _Z17warp_store_kernelILj1024ELj4ELj1ELN7rocprim17ROCPRIM_304000_NS17warp_store_methodE0EfEvPT3_S4_.kd
    .uniform_work_group_size: 1
    .uses_dynamic_stack: false
    .vgpr_count:     5
    .vgpr_spill_count: 0
    .wavefront_size: 64
  - .args:
      - .address_space:  global
        .offset:         0
        .size:           8
        .value_kind:     global_buffer
      - .address_space:  global
        .offset:         8
        .size:           8
        .value_kind:     global_buffer
    .group_segment_fixed_size: 4096
    .kernarg_segment_align: 8
    .kernarg_segment_size: 16
    .language:       OpenCL C
    .language_version:
      - 2
      - 0
    .max_flat_workgroup_size: 1024
    .name:           _Z17warp_store_kernelILj1024ELj4ELj1ELN7rocprim17ROCPRIM_304000_NS17warp_store_methodE3EhEvPT3_S4_
    .private_segment_fixed_size: 0
    .sgpr_count:     10
    .sgpr_spill_count: 0
    .symbol:         _Z17warp_store_kernelILj1024ELj4ELj1ELN7rocprim17ROCPRIM_304000_NS17warp_store_methodE3EhEvPT3_S4_.kd
    .uniform_work_group_size: 1
    .uses_dynamic_stack: false
    .vgpr_count:     2
    .vgpr_spill_count: 0
    .wavefront_size: 64
  - .args:
      - .address_space:  global
        .offset:         0
        .size:           8
        .value_kind:     global_buffer
      - .address_space:  global
        .offset:         8
        .size:           8
        .value_kind:     global_buffer
    .group_segment_fixed_size: 0
    .kernarg_segment_align: 8
    .kernarg_segment_size: 16
    .language:       OpenCL C
    .language_version:
      - 2
      - 0
    .max_flat_workgroup_size: 1024
    .name:           _Z17warp_store_kernelILj1024ELj4ELj1ELN7rocprim17ROCPRIM_304000_NS17warp_store_methodE2EhEvPT3_S4_
    .private_segment_fixed_size: 0
    .sgpr_count:     10
    .sgpr_spill_count: 0
    .symbol:         _Z17warp_store_kernelILj1024ELj4ELj1ELN7rocprim17ROCPRIM_304000_NS17warp_store_methodE2EhEvPT3_S4_.kd
    .uniform_work_group_size: 1
    .uses_dynamic_stack: false
    .vgpr_count:     2
    .vgpr_spill_count: 0
    .wavefront_size: 64
  - .args:
      - .address_space:  global
        .offset:         0
        .size:           8
        .value_kind:     global_buffer
      - .address_space:  global
        .offset:         8
        .size:           8
        .value_kind:     global_buffer
    .group_segment_fixed_size: 0
    .kernarg_segment_align: 8
    .kernarg_segment_size: 16
    .language:       OpenCL C
    .language_version:
      - 2
      - 0
    .max_flat_workgroup_size: 1024
    .name:           _Z17warp_store_kernelILj1024ELj4ELj1ELN7rocprim17ROCPRIM_304000_NS17warp_store_methodE1EhEvPT3_S4_
    .private_segment_fixed_size: 0
    .sgpr_count:     10
    .sgpr_spill_count: 0
    .symbol:         _Z17warp_store_kernelILj1024ELj4ELj1ELN7rocprim17ROCPRIM_304000_NS17warp_store_methodE1EhEvPT3_S4_.kd
    .uniform_work_group_size: 1
    .uses_dynamic_stack: false
    .vgpr_count:     2
    .vgpr_spill_count: 0
    .wavefront_size: 64
  - .args:
      - .address_space:  global
        .offset:         0
        .size:           8
        .value_kind:     global_buffer
      - .address_space:  global
        .offset:         8
        .size:           8
        .value_kind:     global_buffer
    .group_segment_fixed_size: 0
    .kernarg_segment_align: 8
    .kernarg_segment_size: 16
    .language:       OpenCL C
    .language_version:
      - 2
      - 0
    .max_flat_workgroup_size: 1024
    .name:           _Z17warp_store_kernelILj1024ELj4ELj1ELN7rocprim17ROCPRIM_304000_NS17warp_store_methodE0EhEvPT3_S4_
    .private_segment_fixed_size: 0
    .sgpr_count:     10
    .sgpr_spill_count: 0
    .symbol:         _Z17warp_store_kernelILj1024ELj4ELj1ELN7rocprim17ROCPRIM_304000_NS17warp_store_methodE0EhEvPT3_S4_.kd
    .uniform_work_group_size: 1
    .uses_dynamic_stack: false
    .vgpr_count:     2
    .vgpr_spill_count: 0
    .wavefront_size: 64
  - .args:
      - .address_space:  global
        .offset:         0
        .size:           8
        .value_kind:     global_buffer
      - .address_space:  global
        .offset:         8
        .size:           8
        .value_kind:     global_buffer
    .group_segment_fixed_size: 4096
    .kernarg_segment_align: 8
    .kernarg_segment_size: 16
    .language:       OpenCL C
    .language_version:
      - 2
      - 0
    .max_flat_workgroup_size: 1024
    .name:           _Z17warp_store_kernelILj1024ELj4ELj1ELN7rocprim17ROCPRIM_304000_NS17warp_store_methodE3EaEvPT3_S4_
    .private_segment_fixed_size: 0
    .sgpr_count:     10
    .sgpr_spill_count: 0
    .symbol:         _Z17warp_store_kernelILj1024ELj4ELj1ELN7rocprim17ROCPRIM_304000_NS17warp_store_methodE3EaEvPT3_S4_.kd
    .uniform_work_group_size: 1
    .uses_dynamic_stack: false
    .vgpr_count:     2
    .vgpr_spill_count: 0
    .wavefront_size: 64
  - .args:
      - .address_space:  global
        .offset:         0
        .size:           8
        .value_kind:     global_buffer
      - .address_space:  global
        .offset:         8
        .size:           8
        .value_kind:     global_buffer
    .group_segment_fixed_size: 0
    .kernarg_segment_align: 8
    .kernarg_segment_size: 16
    .language:       OpenCL C
    .language_version:
      - 2
      - 0
    .max_flat_workgroup_size: 1024
    .name:           _Z17warp_store_kernelILj1024ELj4ELj1ELN7rocprim17ROCPRIM_304000_NS17warp_store_methodE2EaEvPT3_S4_
    .private_segment_fixed_size: 0
    .sgpr_count:     10
    .sgpr_spill_count: 0
    .symbol:         _Z17warp_store_kernelILj1024ELj4ELj1ELN7rocprim17ROCPRIM_304000_NS17warp_store_methodE2EaEvPT3_S4_.kd
    .uniform_work_group_size: 1
    .uses_dynamic_stack: false
    .vgpr_count:     2
    .vgpr_spill_count: 0
    .wavefront_size: 64
  - .args:
      - .address_space:  global
        .offset:         0
        .size:           8
        .value_kind:     global_buffer
      - .address_space:  global
        .offset:         8
        .size:           8
        .value_kind:     global_buffer
    .group_segment_fixed_size: 0
    .kernarg_segment_align: 8
    .kernarg_segment_size: 16
    .language:       OpenCL C
    .language_version:
      - 2
      - 0
    .max_flat_workgroup_size: 1024
    .name:           _Z17warp_store_kernelILj1024ELj4ELj1ELN7rocprim17ROCPRIM_304000_NS17warp_store_methodE1EaEvPT3_S4_
    .private_segment_fixed_size: 0
    .sgpr_count:     10
    .sgpr_spill_count: 0
    .symbol:         _Z17warp_store_kernelILj1024ELj4ELj1ELN7rocprim17ROCPRIM_304000_NS17warp_store_methodE1EaEvPT3_S4_.kd
    .uniform_work_group_size: 1
    .uses_dynamic_stack: false
    .vgpr_count:     2
    .vgpr_spill_count: 0
    .wavefront_size: 64
  - .args:
      - .address_space:  global
        .offset:         0
        .size:           8
        .value_kind:     global_buffer
      - .address_space:  global
        .offset:         8
        .size:           8
        .value_kind:     global_buffer
    .group_segment_fixed_size: 0
    .kernarg_segment_align: 8
    .kernarg_segment_size: 16
    .language:       OpenCL C
    .language_version:
      - 2
      - 0
    .max_flat_workgroup_size: 1024
    .name:           _Z17warp_store_kernelILj1024ELj4ELj1ELN7rocprim17ROCPRIM_304000_NS17warp_store_methodE0EaEvPT3_S4_
    .private_segment_fixed_size: 0
    .sgpr_count:     10
    .sgpr_spill_count: 0
    .symbol:         _Z17warp_store_kernelILj1024ELj4ELj1ELN7rocprim17ROCPRIM_304000_NS17warp_store_methodE0EaEvPT3_S4_.kd
    .uniform_work_group_size: 1
    .uses_dynamic_stack: false
    .vgpr_count:     2
    .vgpr_spill_count: 0
    .wavefront_size: 64
  - .args:
      - .address_space:  global
        .offset:         0
        .size:           8
        .value_kind:     global_buffer
      - .address_space:  global
        .offset:         8
        .size:           8
        .value_kind:     global_buffer
    .group_segment_fixed_size: 32768
    .kernarg_segment_align: 8
    .kernarg_segment_size: 16
    .language:       OpenCL C
    .language_version:
      - 2
      - 0
    .max_flat_workgroup_size: 1024
    .name:           _Z17warp_store_kernelILj1024ELj4ELj32ELN7rocprim17ROCPRIM_304000_NS17warp_store_methodE3E15HIP_vector_typeIfLj2EEEvPT3_S6_
    .private_segment_fixed_size: 0
    .sgpr_count:     10
    .sgpr_spill_count: 0
    .symbol:         _Z17warp_store_kernelILj1024ELj4ELj32ELN7rocprim17ROCPRIM_304000_NS17warp_store_methodE3E15HIP_vector_typeIfLj2EEEvPT3_S6_.kd
    .uniform_work_group_size: 1
    .uses_dynamic_stack: false
    .vgpr_count:     13
    .vgpr_spill_count: 0
    .wavefront_size: 64
  - .args:
      - .address_space:  global
        .offset:         0
        .size:           8
        .value_kind:     global_buffer
      - .address_space:  global
        .offset:         8
        .size:           8
        .value_kind:     global_buffer
    .group_segment_fixed_size: 0
    .kernarg_segment_align: 8
    .kernarg_segment_size: 16
    .language:       OpenCL C
    .language_version:
      - 2
      - 0
    .max_flat_workgroup_size: 1024
    .name:           _Z17warp_store_kernelILj1024ELj4ELj32ELN7rocprim17ROCPRIM_304000_NS17warp_store_methodE2E15HIP_vector_typeIfLj2EEEvPT3_S6_
    .private_segment_fixed_size: 0
    .sgpr_count:     10
    .sgpr_spill_count: 0
    .symbol:         _Z17warp_store_kernelILj1024ELj4ELj32ELN7rocprim17ROCPRIM_304000_NS17warp_store_methodE2E15HIP_vector_typeIfLj2EEEvPT3_S6_.kd
    .uniform_work_group_size: 1
    .uses_dynamic_stack: false
    .vgpr_count:     11
    .vgpr_spill_count: 0
    .wavefront_size: 64
  - .args:
      - .address_space:  global
        .offset:         0
        .size:           8
        .value_kind:     global_buffer
      - .address_space:  global
        .offset:         8
        .size:           8
        .value_kind:     global_buffer
    .group_segment_fixed_size: 0
    .kernarg_segment_align: 8
    .kernarg_segment_size: 16
    .language:       OpenCL C
    .language_version:
      - 2
      - 0
    .max_flat_workgroup_size: 1024
    .name:           _Z17warp_store_kernelILj1024ELj4ELj32ELN7rocprim17ROCPRIM_304000_NS17warp_store_methodE1E15HIP_vector_typeIfLj2EEEvPT3_S6_
    .private_segment_fixed_size: 0
    .sgpr_count:     10
    .sgpr_spill_count: 0
    .symbol:         _Z17warp_store_kernelILj1024ELj4ELj32ELN7rocprim17ROCPRIM_304000_NS17warp_store_methodE1E15HIP_vector_typeIfLj2EEEvPT3_S6_.kd
    .uniform_work_group_size: 1
    .uses_dynamic_stack: false
    .vgpr_count:     11
    .vgpr_spill_count: 0
    .wavefront_size: 64
  - .args:
      - .address_space:  global
        .offset:         0
        .size:           8
        .value_kind:     global_buffer
      - .address_space:  global
        .offset:         8
        .size:           8
        .value_kind:     global_buffer
    .group_segment_fixed_size: 0
    .kernarg_segment_align: 8
    .kernarg_segment_size: 16
    .language:       OpenCL C
    .language_version:
      - 2
      - 0
    .max_flat_workgroup_size: 1024
    .name:           _Z17warp_store_kernelILj1024ELj4ELj32ELN7rocprim17ROCPRIM_304000_NS17warp_store_methodE0E15HIP_vector_typeIfLj2EEEvPT3_S6_
    .private_segment_fixed_size: 0
    .sgpr_count:     10
    .sgpr_spill_count: 0
    .symbol:         _Z17warp_store_kernelILj1024ELj4ELj32ELN7rocprim17ROCPRIM_304000_NS17warp_store_methodE0E15HIP_vector_typeIfLj2EEEvPT3_S6_.kd
    .uniform_work_group_size: 1
    .uses_dynamic_stack: false
    .vgpr_count:     11
    .vgpr_spill_count: 0
    .wavefront_size: 64
  - .args:
      - .address_space:  global
        .offset:         0
        .size:           8
        .value_kind:     global_buffer
      - .address_space:  global
        .offset:         8
        .size:           8
        .value_kind:     global_buffer
    .group_segment_fixed_size: 16384
    .kernarg_segment_align: 8
    .kernarg_segment_size: 16
    .language:       OpenCL C
    .language_version:
      - 2
      - 0
    .max_flat_workgroup_size: 1024
    .name:           _Z17warp_store_kernelILj1024ELj4ELj64ELN7rocprim17ROCPRIM_304000_NS17warp_store_methodE3EiEvPT3_S4_
    .private_segment_fixed_size: 0
    .sgpr_count:     10
    .sgpr_spill_count: 0
    .symbol:         _Z17warp_store_kernelILj1024ELj4ELj64ELN7rocprim17ROCPRIM_304000_NS17warp_store_methodE3EiEvPT3_S4_.kd
    .uniform_work_group_size: 1
    .uses_dynamic_stack: false
    .vgpr_count:     10
    .vgpr_spill_count: 0
    .wavefront_size: 64
  - .args:
      - .address_space:  global
        .offset:         0
        .size:           8
        .value_kind:     global_buffer
      - .address_space:  global
        .offset:         8
        .size:           8
        .value_kind:     global_buffer
    .group_segment_fixed_size: 0
    .kernarg_segment_align: 8
    .kernarg_segment_size: 16
    .language:       OpenCL C
    .language_version:
      - 2
      - 0
    .max_flat_workgroup_size: 1024
    .name:           _Z17warp_store_kernelILj1024ELj4ELj64ELN7rocprim17ROCPRIM_304000_NS17warp_store_methodE2EiEvPT3_S4_
    .private_segment_fixed_size: 0
    .sgpr_count:     10
    .sgpr_spill_count: 0
    .symbol:         _Z17warp_store_kernelILj1024ELj4ELj64ELN7rocprim17ROCPRIM_304000_NS17warp_store_methodE2EiEvPT3_S4_.kd
    .uniform_work_group_size: 1
    .uses_dynamic_stack: false
    .vgpr_count:     7
    .vgpr_spill_count: 0
    .wavefront_size: 64
  - .args:
      - .address_space:  global
        .offset:         0
        .size:           8
        .value_kind:     global_buffer
      - .address_space:  global
        .offset:         8
        .size:           8
        .value_kind:     global_buffer
    .group_segment_fixed_size: 0
    .kernarg_segment_align: 8
    .kernarg_segment_size: 16
    .language:       OpenCL C
    .language_version:
      - 2
      - 0
    .max_flat_workgroup_size: 1024
    .name:           _Z17warp_store_kernelILj1024ELj4ELj64ELN7rocprim17ROCPRIM_304000_NS17warp_store_methodE1EiEvPT3_S4_
    .private_segment_fixed_size: 0
    .sgpr_count:     10
    .sgpr_spill_count: 0
    .symbol:         _Z17warp_store_kernelILj1024ELj4ELj64ELN7rocprim17ROCPRIM_304000_NS17warp_store_methodE1EiEvPT3_S4_.kd
    .uniform_work_group_size: 1
    .uses_dynamic_stack: false
    .vgpr_count:     8
    .vgpr_spill_count: 0
    .wavefront_size: 64
  - .args:
      - .address_space:  global
        .offset:         0
        .size:           8
        .value_kind:     global_buffer
      - .address_space:  global
        .offset:         8
        .size:           8
        .value_kind:     global_buffer
    .group_segment_fixed_size: 0
    .kernarg_segment_align: 8
    .kernarg_segment_size: 16
    .language:       OpenCL C
    .language_version:
      - 2
      - 0
    .max_flat_workgroup_size: 1024
    .name:           _Z17warp_store_kernelILj1024ELj4ELj64ELN7rocprim17ROCPRIM_304000_NS17warp_store_methodE0EiEvPT3_S4_
    .private_segment_fixed_size: 0
    .sgpr_count:     10
    .sgpr_spill_count: 0
    .symbol:         _Z17warp_store_kernelILj1024ELj4ELj64ELN7rocprim17ROCPRIM_304000_NS17warp_store_methodE0EiEvPT3_S4_.kd
    .uniform_work_group_size: 1
    .uses_dynamic_stack: false
    .vgpr_count:     7
    .vgpr_spill_count: 0
    .wavefront_size: 64
  - .args:
      - .address_space:  global
        .offset:         0
        .size:           8
        .value_kind:     global_buffer
      - .address_space:  global
        .offset:         8
        .size:           8
        .value_kind:     global_buffer
    .group_segment_fixed_size: 20480
    .kernarg_segment_align: 8
    .kernarg_segment_size: 16
    .language:       OpenCL C
    .language_version:
      - 2
      - 0
    .max_flat_workgroup_size: 1024
    .name:           _Z17warp_store_kernelILj1024ELj5ELj32ELN7rocprim17ROCPRIM_304000_NS17warp_store_methodE3EiEvPT3_S4_
    .private_segment_fixed_size: 0
    .sgpr_count:     10
    .sgpr_spill_count: 0
    .symbol:         _Z17warp_store_kernelILj1024ELj5ELj32ELN7rocprim17ROCPRIM_304000_NS17warp_store_methodE3EiEvPT3_S4_.kd
    .uniform_work_group_size: 1
    .uses_dynamic_stack: false
    .vgpr_count:     10
    .vgpr_spill_count: 0
    .wavefront_size: 64
  - .args:
      - .address_space:  global
        .offset:         0
        .size:           8
        .value_kind:     global_buffer
      - .address_space:  global
        .offset:         8
        .size:           8
        .value_kind:     global_buffer
    .group_segment_fixed_size: 0
    .kernarg_segment_align: 8
    .kernarg_segment_size: 16
    .language:       OpenCL C
    .language_version:
      - 2
      - 0
    .max_flat_workgroup_size: 1024
    .name:           _Z17warp_store_kernelILj1024ELj5ELj32ELN7rocprim17ROCPRIM_304000_NS17warp_store_methodE2EiEvPT3_S4_
    .private_segment_fixed_size: 0
    .sgpr_count:     10
    .sgpr_spill_count: 0
    .symbol:         _Z17warp_store_kernelILj1024ELj5ELj32ELN7rocprim17ROCPRIM_304000_NS17warp_store_methodE2EiEvPT3_S4_.kd
    .uniform_work_group_size: 1
    .uses_dynamic_stack: false
    .vgpr_count:     8
    .vgpr_spill_count: 0
    .wavefront_size: 64
  - .args:
      - .address_space:  global
        .offset:         0
        .size:           8
        .value_kind:     global_buffer
      - .address_space:  global
        .offset:         8
        .size:           8
        .value_kind:     global_buffer
    .group_segment_fixed_size: 0
    .kernarg_segment_align: 8
    .kernarg_segment_size: 16
    .language:       OpenCL C
    .language_version:
      - 2
      - 0
    .max_flat_workgroup_size: 1024
    .name:           _Z17warp_store_kernelILj1024ELj5ELj32ELN7rocprim17ROCPRIM_304000_NS17warp_store_methodE1EiEvPT3_S4_
    .private_segment_fixed_size: 0
    .sgpr_count:     10
    .sgpr_spill_count: 0
    .symbol:         _Z17warp_store_kernelILj1024ELj5ELj32ELN7rocprim17ROCPRIM_304000_NS17warp_store_methodE1EiEvPT3_S4_.kd
    .uniform_work_group_size: 1
    .uses_dynamic_stack: false
    .vgpr_count:     8
    .vgpr_spill_count: 0
    .wavefront_size: 64
  - .args:
      - .address_space:  global
        .offset:         0
        .size:           8
        .value_kind:     global_buffer
      - .address_space:  global
        .offset:         8
        .size:           8
        .value_kind:     global_buffer
    .group_segment_fixed_size: 0
    .kernarg_segment_align: 8
    .kernarg_segment_size: 16
    .language:       OpenCL C
    .language_version:
      - 2
      - 0
    .max_flat_workgroup_size: 1024
    .name:           _Z17warp_store_kernelILj1024ELj5ELj32ELN7rocprim17ROCPRIM_304000_NS17warp_store_methodE0EiEvPT3_S4_
    .private_segment_fixed_size: 0
    .sgpr_count:     10
    .sgpr_spill_count: 0
    .symbol:         _Z17warp_store_kernelILj1024ELj5ELj32ELN7rocprim17ROCPRIM_304000_NS17warp_store_methodE0EiEvPT3_S4_.kd
    .uniform_work_group_size: 1
    .uses_dynamic_stack: false
    .vgpr_count:     8
    .vgpr_spill_count: 0
    .wavefront_size: 64
  - .args:
      - .address_space:  global
        .offset:         0
        .size:           8
        .value_kind:     global_buffer
      - .address_space:  global
        .offset:         8
        .size:           8
        .value_kind:     global_buffer
    .group_segment_fixed_size: 16384
    .kernarg_segment_align: 8
    .kernarg_segment_size: 16
    .language:       OpenCL C
    .language_version:
      - 2
      - 0
    .max_flat_workgroup_size: 1024
    .name:           _Z17warp_store_kernelILj1024ELj4ELj32ELN7rocprim17ROCPRIM_304000_NS17warp_store_methodE3EiEvPT3_S4_
    .private_segment_fixed_size: 0
    .sgpr_count:     10
    .sgpr_spill_count: 0
    .symbol:         _Z17warp_store_kernelILj1024ELj4ELj32ELN7rocprim17ROCPRIM_304000_NS17warp_store_methodE3EiEvPT3_S4_.kd
    .uniform_work_group_size: 1
    .uses_dynamic_stack: false
    .vgpr_count:     9
    .vgpr_spill_count: 0
    .wavefront_size: 64
  - .args:
      - .address_space:  global
        .offset:         0
        .size:           8
        .value_kind:     global_buffer
      - .address_space:  global
        .offset:         8
        .size:           8
        .value_kind:     global_buffer
    .group_segment_fixed_size: 0
    .kernarg_segment_align: 8
    .kernarg_segment_size: 16
    .language:       OpenCL C
    .language_version:
      - 2
      - 0
    .max_flat_workgroup_size: 1024
    .name:           _Z17warp_store_kernelILj1024ELj4ELj32ELN7rocprim17ROCPRIM_304000_NS17warp_store_methodE2EiEvPT3_S4_
    .private_segment_fixed_size: 0
    .sgpr_count:     10
    .sgpr_spill_count: 0
    .symbol:         _Z17warp_store_kernelILj1024ELj4ELj32ELN7rocprim17ROCPRIM_304000_NS17warp_store_methodE2EiEvPT3_S4_.kd
    .uniform_work_group_size: 1
    .uses_dynamic_stack: false
    .vgpr_count:     7
    .vgpr_spill_count: 0
    .wavefront_size: 64
  - .args:
      - .address_space:  global
        .offset:         0
        .size:           8
        .value_kind:     global_buffer
      - .address_space:  global
        .offset:         8
        .size:           8
        .value_kind:     global_buffer
    .group_segment_fixed_size: 0
    .kernarg_segment_align: 8
    .kernarg_segment_size: 16
    .language:       OpenCL C
    .language_version:
      - 2
      - 0
    .max_flat_workgroup_size: 1024
    .name:           _Z17warp_store_kernelILj1024ELj4ELj32ELN7rocprim17ROCPRIM_304000_NS17warp_store_methodE1EiEvPT3_S4_
    .private_segment_fixed_size: 0
    .sgpr_count:     10
    .sgpr_spill_count: 0
    .symbol:         _Z17warp_store_kernelILj1024ELj4ELj32ELN7rocprim17ROCPRIM_304000_NS17warp_store_methodE1EiEvPT3_S4_.kd
    .uniform_work_group_size: 1
    .uses_dynamic_stack: false
    .vgpr_count:     7
    .vgpr_spill_count: 0
    .wavefront_size: 64
  - .args:
      - .address_space:  global
        .offset:         0
        .size:           8
        .value_kind:     global_buffer
      - .address_space:  global
        .offset:         8
        .size:           8
        .value_kind:     global_buffer
    .group_segment_fixed_size: 0
    .kernarg_segment_align: 8
    .kernarg_segment_size: 16
    .language:       OpenCL C
    .language_version:
      - 2
      - 0
    .max_flat_workgroup_size: 1024
    .name:           _Z17warp_store_kernelILj1024ELj4ELj32ELN7rocprim17ROCPRIM_304000_NS17warp_store_methodE0EiEvPT3_S4_
    .private_segment_fixed_size: 0
    .sgpr_count:     10
    .sgpr_spill_count: 0
    .symbol:         _Z17warp_store_kernelILj1024ELj4ELj32ELN7rocprim17ROCPRIM_304000_NS17warp_store_methodE0EiEvPT3_S4_.kd
    .uniform_work_group_size: 1
    .uses_dynamic_stack: false
    .vgpr_count:     7
    .vgpr_spill_count: 0
    .wavefront_size: 64
  - .args:
      - .address_space:  global
        .offset:         0
        .size:           8
        .value_kind:     global_buffer
      - .address_space:  global
        .offset:         8
        .size:           8
        .value_kind:     global_buffer
    .group_segment_fixed_size: 16384
    .kernarg_segment_align: 8
    .kernarg_segment_size: 16
    .language:       OpenCL C
    .language_version:
      - 2
      - 0
    .max_flat_workgroup_size: 1024
    .name:           _Z17warp_store_kernelILj1024ELj4ELj8ELN7rocprim17ROCPRIM_304000_NS17warp_store_methodE3EiEvPT3_S4_
    .private_segment_fixed_size: 0
    .sgpr_count:     10
    .sgpr_spill_count: 0
    .symbol:         _Z17warp_store_kernelILj1024ELj4ELj8ELN7rocprim17ROCPRIM_304000_NS17warp_store_methodE3EiEvPT3_S4_.kd
    .uniform_work_group_size: 1
    .uses_dynamic_stack: false
    .vgpr_count:     9
    .vgpr_spill_count: 0
    .wavefront_size: 64
  - .args:
      - .address_space:  global
        .offset:         0
        .size:           8
        .value_kind:     global_buffer
      - .address_space:  global
        .offset:         8
        .size:           8
        .value_kind:     global_buffer
    .group_segment_fixed_size: 0
    .kernarg_segment_align: 8
    .kernarg_segment_size: 16
    .language:       OpenCL C
    .language_version:
      - 2
      - 0
    .max_flat_workgroup_size: 1024
    .name:           _Z17warp_store_kernelILj1024ELj4ELj8ELN7rocprim17ROCPRIM_304000_NS17warp_store_methodE2EiEvPT3_S4_
    .private_segment_fixed_size: 0
    .sgpr_count:     10
    .sgpr_spill_count: 0
    .symbol:         _Z17warp_store_kernelILj1024ELj4ELj8ELN7rocprim17ROCPRIM_304000_NS17warp_store_methodE2EiEvPT3_S4_.kd
    .uniform_work_group_size: 1
    .uses_dynamic_stack: false
    .vgpr_count:     7
    .vgpr_spill_count: 0
    .wavefront_size: 64
  - .args:
      - .address_space:  global
        .offset:         0
        .size:           8
        .value_kind:     global_buffer
      - .address_space:  global
        .offset:         8
        .size:           8
        .value_kind:     global_buffer
    .group_segment_fixed_size: 0
    .kernarg_segment_align: 8
    .kernarg_segment_size: 16
    .language:       OpenCL C
    .language_version:
      - 2
      - 0
    .max_flat_workgroup_size: 1024
    .name:           _Z17warp_store_kernelILj1024ELj4ELj8ELN7rocprim17ROCPRIM_304000_NS17warp_store_methodE1EiEvPT3_S4_
    .private_segment_fixed_size: 0
    .sgpr_count:     10
    .sgpr_spill_count: 0
    .symbol:         _Z17warp_store_kernelILj1024ELj4ELj8ELN7rocprim17ROCPRIM_304000_NS17warp_store_methodE1EiEvPT3_S4_.kd
    .uniform_work_group_size: 1
    .uses_dynamic_stack: false
    .vgpr_count:     7
    .vgpr_spill_count: 0
    .wavefront_size: 64
  - .args:
      - .address_space:  global
        .offset:         0
        .size:           8
        .value_kind:     global_buffer
      - .address_space:  global
        .offset:         8
        .size:           8
        .value_kind:     global_buffer
    .group_segment_fixed_size: 0
    .kernarg_segment_align: 8
    .kernarg_segment_size: 16
    .language:       OpenCL C
    .language_version:
      - 2
      - 0
    .max_flat_workgroup_size: 1024
    .name:           _Z17warp_store_kernelILj1024ELj4ELj8ELN7rocprim17ROCPRIM_304000_NS17warp_store_methodE0EiEvPT3_S4_
    .private_segment_fixed_size: 0
    .sgpr_count:     10
    .sgpr_spill_count: 0
    .symbol:         _Z17warp_store_kernelILj1024ELj4ELj8ELN7rocprim17ROCPRIM_304000_NS17warp_store_methodE0EiEvPT3_S4_.kd
    .uniform_work_group_size: 1
    .uses_dynamic_stack: false
    .vgpr_count:     7
    .vgpr_spill_count: 0
    .wavefront_size: 64
  - .args:
      - .address_space:  global
        .offset:         0
        .size:           8
        .value_kind:     global_buffer
      - .address_space:  global
        .offset:         8
        .size:           8
        .value_kind:     global_buffer
      - .offset:         16
        .size:           4
        .value_kind:     by_value
    .group_segment_fixed_size: 8192
    .kernarg_segment_align: 8
    .kernarg_segment_size: 20
    .language:       OpenCL C
    .language_version:
      - 2
      - 0
    .max_flat_workgroup_size: 1024
    .name:           _Z25warp_store_guarded_kernelILj1024ELj4ELj1ELN7rocprim17ROCPRIM_304000_NS17warp_store_methodE3E12hip_bfloat16EvPT3_S5_i
    .private_segment_fixed_size: 0
    .sgpr_count:     16
    .sgpr_spill_count: 0
    .symbol:         _Z25warp_store_guarded_kernelILj1024ELj4ELj1ELN7rocprim17ROCPRIM_304000_NS17warp_store_methodE3E12hip_bfloat16EvPT3_S5_i.kd
    .uniform_work_group_size: 1
    .uses_dynamic_stack: false
    .vgpr_count:     5
    .vgpr_spill_count: 0
    .wavefront_size: 64
  - .args:
      - .address_space:  global
        .offset:         0
        .size:           8
        .value_kind:     global_buffer
      - .address_space:  global
        .offset:         8
        .size:           8
        .value_kind:     global_buffer
      - .offset:         16
        .size:           4
        .value_kind:     by_value
    .group_segment_fixed_size: 0
    .kernarg_segment_align: 8
    .kernarg_segment_size: 20
    .language:       OpenCL C
    .language_version:
      - 2
      - 0
    .max_flat_workgroup_size: 1024
    .name:           _Z25warp_store_guarded_kernelILj1024ELj4ELj1ELN7rocprim17ROCPRIM_304000_NS17warp_store_methodE2E12hip_bfloat16EvPT3_S5_i
    .private_segment_fixed_size: 0
    .sgpr_count:     11
    .sgpr_spill_count: 0
    .symbol:         _Z25warp_store_guarded_kernelILj1024ELj4ELj1ELN7rocprim17ROCPRIM_304000_NS17warp_store_methodE2E12hip_bfloat16EvPT3_S5_i.kd
    .uniform_work_group_size: 1
    .uses_dynamic_stack: false
    .vgpr_count:     6
    .vgpr_spill_count: 0
    .wavefront_size: 64
  - .args:
      - .address_space:  global
        .offset:         0
        .size:           8
        .value_kind:     global_buffer
      - .address_space:  global
        .offset:         8
        .size:           8
        .value_kind:     global_buffer
      - .offset:         16
        .size:           4
        .value_kind:     by_value
    .group_segment_fixed_size: 0
    .kernarg_segment_align: 8
    .kernarg_segment_size: 20
    .language:       OpenCL C
    .language_version:
      - 2
      - 0
    .max_flat_workgroup_size: 1024
    .name:           _Z25warp_store_guarded_kernelILj1024ELj4ELj1ELN7rocprim17ROCPRIM_304000_NS17warp_store_methodE1E12hip_bfloat16EvPT3_S5_i
    .private_segment_fixed_size: 0
    .sgpr_count:     11
    .sgpr_spill_count: 0
    .symbol:         _Z25warp_store_guarded_kernelILj1024ELj4ELj1ELN7rocprim17ROCPRIM_304000_NS17warp_store_methodE1E12hip_bfloat16EvPT3_S5_i.kd
    .uniform_work_group_size: 1
    .uses_dynamic_stack: false
    .vgpr_count:     6
    .vgpr_spill_count: 0
    .wavefront_size: 64
  - .args:
      - .address_space:  global
        .offset:         0
        .size:           8
        .value_kind:     global_buffer
      - .address_space:  global
        .offset:         8
        .size:           8
        .value_kind:     global_buffer
      - .offset:         16
        .size:           4
        .value_kind:     by_value
    .group_segment_fixed_size: 0
    .kernarg_segment_align: 8
    .kernarg_segment_size: 20
    .language:       OpenCL C
    .language_version:
      - 2
      - 0
    .max_flat_workgroup_size: 1024
    .name:           _Z25warp_store_guarded_kernelILj1024ELj4ELj1ELN7rocprim17ROCPRIM_304000_NS17warp_store_methodE0E12hip_bfloat16EvPT3_S5_i
    .private_segment_fixed_size: 0
    .sgpr_count:     11
    .sgpr_spill_count: 0
    .symbol:         _Z25warp_store_guarded_kernelILj1024ELj4ELj1ELN7rocprim17ROCPRIM_304000_NS17warp_store_methodE0E12hip_bfloat16EvPT3_S5_i.kd
    .uniform_work_group_size: 1
    .uses_dynamic_stack: false
    .vgpr_count:     6
    .vgpr_spill_count: 0
    .wavefront_size: 64
  - .args:
      - .address_space:  global
        .offset:         0
        .size:           8
        .value_kind:     global_buffer
      - .address_space:  global
        .offset:         8
        .size:           8
        .value_kind:     global_buffer
      - .offset:         16
        .size:           4
        .value_kind:     by_value
    .group_segment_fixed_size: 32768
    .kernarg_segment_align: 8
    .kernarg_segment_size: 20
    .language:       OpenCL C
    .language_version:
      - 2
      - 0
    .max_flat_workgroup_size: 1024
    .name:           _Z25warp_store_guarded_kernelILj1024ELj4ELj1ELN7rocprim17ROCPRIM_304000_NS17warp_store_methodE3EdEvPT3_S4_i
    .private_segment_fixed_size: 0
    .sgpr_count:     16
    .sgpr_spill_count: 0
    .symbol:         _Z25warp_store_guarded_kernelILj1024ELj4ELj1ELN7rocprim17ROCPRIM_304000_NS17warp_store_methodE3EdEvPT3_S4_i.kd
    .uniform_work_group_size: 1
    .uses_dynamic_stack: false
    .vgpr_count:     11
    .vgpr_spill_count: 0
    .wavefront_size: 64
  - .args:
      - .address_space:  global
        .offset:         0
        .size:           8
        .value_kind:     global_buffer
      - .address_space:  global
        .offset:         8
        .size:           8
        .value_kind:     global_buffer
      - .offset:         16
        .size:           4
        .value_kind:     by_value
    .group_segment_fixed_size: 0
    .kernarg_segment_align: 8
    .kernarg_segment_size: 20
    .language:       OpenCL C
    .language_version:
      - 2
      - 0
    .max_flat_workgroup_size: 1024
    .name:           _Z25warp_store_guarded_kernelILj1024ELj4ELj1ELN7rocprim17ROCPRIM_304000_NS17warp_store_methodE2EdEvPT3_S4_i
    .private_segment_fixed_size: 0
    .sgpr_count:     11
    .sgpr_spill_count: 0
    .symbol:         _Z25warp_store_guarded_kernelILj1024ELj4ELj1ELN7rocprim17ROCPRIM_304000_NS17warp_store_methodE2EdEvPT3_S4_i.kd
    .uniform_work_group_size: 1
    .uses_dynamic_stack: false
    .vgpr_count:     10
    .vgpr_spill_count: 0
    .wavefront_size: 64
  - .args:
      - .address_space:  global
        .offset:         0
        .size:           8
        .value_kind:     global_buffer
      - .address_space:  global
        .offset:         8
        .size:           8
        .value_kind:     global_buffer
      - .offset:         16
        .size:           4
        .value_kind:     by_value
    .group_segment_fixed_size: 0
    .kernarg_segment_align: 8
    .kernarg_segment_size: 20
    .language:       OpenCL C
    .language_version:
      - 2
      - 0
    .max_flat_workgroup_size: 1024
    .name:           _Z25warp_store_guarded_kernelILj1024ELj4ELj1ELN7rocprim17ROCPRIM_304000_NS17warp_store_methodE1EdEvPT3_S4_i
    .private_segment_fixed_size: 0
    .sgpr_count:     11
    .sgpr_spill_count: 0
    .symbol:         _Z25warp_store_guarded_kernelILj1024ELj4ELj1ELN7rocprim17ROCPRIM_304000_NS17warp_store_methodE1EdEvPT3_S4_i.kd
    .uniform_work_group_size: 1
    .uses_dynamic_stack: false
    .vgpr_count:     10
    .vgpr_spill_count: 0
    .wavefront_size: 64
  - .args:
      - .address_space:  global
        .offset:         0
        .size:           8
        .value_kind:     global_buffer
      - .address_space:  global
        .offset:         8
        .size:           8
        .value_kind:     global_buffer
      - .offset:         16
        .size:           4
        .value_kind:     by_value
    .group_segment_fixed_size: 0
    .kernarg_segment_align: 8
    .kernarg_segment_size: 20
    .language:       OpenCL C
    .language_version:
      - 2
      - 0
    .max_flat_workgroup_size: 1024
    .name:           _Z25warp_store_guarded_kernelILj1024ELj4ELj1ELN7rocprim17ROCPRIM_304000_NS17warp_store_methodE0EdEvPT3_S4_i
    .private_segment_fixed_size: 0
    .sgpr_count:     11
    .sgpr_spill_count: 0
    .symbol:         _Z25warp_store_guarded_kernelILj1024ELj4ELj1ELN7rocprim17ROCPRIM_304000_NS17warp_store_methodE0EdEvPT3_S4_i.kd
    .uniform_work_group_size: 1
    .uses_dynamic_stack: false
    .vgpr_count:     10
    .vgpr_spill_count: 0
    .wavefront_size: 64
  - .args:
      - .address_space:  global
        .offset:         0
        .size:           8
        .value_kind:     global_buffer
      - .address_space:  global
        .offset:         8
        .size:           8
        .value_kind:     global_buffer
      - .offset:         16
        .size:           4
        .value_kind:     by_value
    .group_segment_fixed_size: 16384
    .kernarg_segment_align: 8
    .kernarg_segment_size: 20
    .language:       OpenCL C
    .language_version:
      - 2
      - 0
    .max_flat_workgroup_size: 1024
    .name:           _Z25warp_store_guarded_kernelILj1024ELj4ELj1ELN7rocprim17ROCPRIM_304000_NS17warp_store_methodE3EfEvPT3_S4_i
    .private_segment_fixed_size: 0
    .sgpr_count:     16
    .sgpr_spill_count: 0
    .symbol:         _Z25warp_store_guarded_kernelILj1024ELj4ELj1ELN7rocprim17ROCPRIM_304000_NS17warp_store_methodE3EfEvPT3_S4_i.kd
    .uniform_work_group_size: 1
    .uses_dynamic_stack: false
    .vgpr_count:     9
    .vgpr_spill_count: 0
    .wavefront_size: 64
  - .args:
      - .address_space:  global
        .offset:         0
        .size:           8
        .value_kind:     global_buffer
      - .address_space:  global
        .offset:         8
        .size:           8
        .value_kind:     global_buffer
      - .offset:         16
        .size:           4
        .value_kind:     by_value
    .group_segment_fixed_size: 0
    .kernarg_segment_align: 8
    .kernarg_segment_size: 20
    .language:       OpenCL C
    .language_version:
      - 2
      - 0
    .max_flat_workgroup_size: 1024
    .name:           _Z25warp_store_guarded_kernelILj1024ELj4ELj1ELN7rocprim17ROCPRIM_304000_NS17warp_store_methodE2EfEvPT3_S4_i
    .private_segment_fixed_size: 0
    .sgpr_count:     11
    .sgpr_spill_count: 0
    .symbol:         _Z25warp_store_guarded_kernelILj1024ELj4ELj1ELN7rocprim17ROCPRIM_304000_NS17warp_store_methodE2EfEvPT3_S4_i.kd
    .uniform_work_group_size: 1
    .uses_dynamic_stack: false
    .vgpr_count:     7
    .vgpr_spill_count: 0
    .wavefront_size: 64
  - .args:
      - .address_space:  global
        .offset:         0
        .size:           8
        .value_kind:     global_buffer
      - .address_space:  global
        .offset:         8
        .size:           8
        .value_kind:     global_buffer
      - .offset:         16
        .size:           4
        .value_kind:     by_value
    .group_segment_fixed_size: 0
    .kernarg_segment_align: 8
    .kernarg_segment_size: 20
    .language:       OpenCL C
    .language_version:
      - 2
      - 0
    .max_flat_workgroup_size: 1024
    .name:           _Z25warp_store_guarded_kernelILj1024ELj4ELj1ELN7rocprim17ROCPRIM_304000_NS17warp_store_methodE1EfEvPT3_S4_i
    .private_segment_fixed_size: 0
    .sgpr_count:     11
    .sgpr_spill_count: 0
    .symbol:         _Z25warp_store_guarded_kernelILj1024ELj4ELj1ELN7rocprim17ROCPRIM_304000_NS17warp_store_methodE1EfEvPT3_S4_i.kd
    .uniform_work_group_size: 1
    .uses_dynamic_stack: false
    .vgpr_count:     7
    .vgpr_spill_count: 0
    .wavefront_size: 64
  - .args:
      - .address_space:  global
        .offset:         0
        .size:           8
        .value_kind:     global_buffer
      - .address_space:  global
        .offset:         8
        .size:           8
        .value_kind:     global_buffer
      - .offset:         16
        .size:           4
        .value_kind:     by_value
    .group_segment_fixed_size: 0
    .kernarg_segment_align: 8
    .kernarg_segment_size: 20
    .language:       OpenCL C
    .language_version:
      - 2
      - 0
    .max_flat_workgroup_size: 1024
    .name:           _Z25warp_store_guarded_kernelILj1024ELj4ELj1ELN7rocprim17ROCPRIM_304000_NS17warp_store_methodE0EfEvPT3_S4_i
    .private_segment_fixed_size: 0
    .sgpr_count:     11
    .sgpr_spill_count: 0
    .symbol:         _Z25warp_store_guarded_kernelILj1024ELj4ELj1ELN7rocprim17ROCPRIM_304000_NS17warp_store_methodE0EfEvPT3_S4_i.kd
    .uniform_work_group_size: 1
    .uses_dynamic_stack: false
    .vgpr_count:     7
    .vgpr_spill_count: 0
    .wavefront_size: 64
  - .args:
      - .address_space:  global
        .offset:         0
        .size:           8
        .value_kind:     global_buffer
      - .address_space:  global
        .offset:         8
        .size:           8
        .value_kind:     global_buffer
      - .offset:         16
        .size:           4
        .value_kind:     by_value
    .group_segment_fixed_size: 4096
    .kernarg_segment_align: 8
    .kernarg_segment_size: 20
    .language:       OpenCL C
    .language_version:
      - 2
      - 0
    .max_flat_workgroup_size: 1024
    .name:           _Z25warp_store_guarded_kernelILj1024ELj4ELj1ELN7rocprim17ROCPRIM_304000_NS17warp_store_methodE3EhEvPT3_S4_i
    .private_segment_fixed_size: 0
    .sgpr_count:     16
    .sgpr_spill_count: 0
    .symbol:         _Z25warp_store_guarded_kernelILj1024ELj4ELj1ELN7rocprim17ROCPRIM_304000_NS17warp_store_methodE3EhEvPT3_S4_i.kd
    .uniform_work_group_size: 1
    .uses_dynamic_stack: false
    .vgpr_count:     4
    .vgpr_spill_count: 0
    .wavefront_size: 64
  - .args:
      - .address_space:  global
        .offset:         0
        .size:           8
        .value_kind:     global_buffer
      - .address_space:  global
        .offset:         8
        .size:           8
        .value_kind:     global_buffer
      - .offset:         16
        .size:           4
        .value_kind:     by_value
    .group_segment_fixed_size: 0
    .kernarg_segment_align: 8
    .kernarg_segment_size: 20
    .language:       OpenCL C
    .language_version:
      - 2
      - 0
    .max_flat_workgroup_size: 1024
    .name:           _Z25warp_store_guarded_kernelILj1024ELj4ELj1ELN7rocprim17ROCPRIM_304000_NS17warp_store_methodE2EhEvPT3_S4_i
    .private_segment_fixed_size: 0
    .sgpr_count:     11
    .sgpr_spill_count: 0
    .symbol:         _Z25warp_store_guarded_kernelILj1024ELj4ELj1ELN7rocprim17ROCPRIM_304000_NS17warp_store_methodE2EhEvPT3_S4_i.kd
    .uniform_work_group_size: 1
    .uses_dynamic_stack: false
    .vgpr_count:     7
    .vgpr_spill_count: 0
    .wavefront_size: 64
  - .args:
      - .address_space:  global
        .offset:         0
        .size:           8
        .value_kind:     global_buffer
      - .address_space:  global
        .offset:         8
        .size:           8
        .value_kind:     global_buffer
      - .offset:         16
        .size:           4
        .value_kind:     by_value
    .group_segment_fixed_size: 0
    .kernarg_segment_align: 8
    .kernarg_segment_size: 20
    .language:       OpenCL C
    .language_version:
      - 2
      - 0
    .max_flat_workgroup_size: 1024
    .name:           _Z25warp_store_guarded_kernelILj1024ELj4ELj1ELN7rocprim17ROCPRIM_304000_NS17warp_store_methodE1EhEvPT3_S4_i
    .private_segment_fixed_size: 0
    .sgpr_count:     11
    .sgpr_spill_count: 0
    .symbol:         _Z25warp_store_guarded_kernelILj1024ELj4ELj1ELN7rocprim17ROCPRIM_304000_NS17warp_store_methodE1EhEvPT3_S4_i.kd
    .uniform_work_group_size: 1
    .uses_dynamic_stack: false
    .vgpr_count:     7
    .vgpr_spill_count: 0
    .wavefront_size: 64
  - .args:
      - .address_space:  global
        .offset:         0
        .size:           8
        .value_kind:     global_buffer
      - .address_space:  global
        .offset:         8
        .size:           8
        .value_kind:     global_buffer
      - .offset:         16
        .size:           4
        .value_kind:     by_value
    .group_segment_fixed_size: 0
    .kernarg_segment_align: 8
    .kernarg_segment_size: 20
    .language:       OpenCL C
    .language_version:
      - 2
      - 0
    .max_flat_workgroup_size: 1024
    .name:           _Z25warp_store_guarded_kernelILj1024ELj4ELj1ELN7rocprim17ROCPRIM_304000_NS17warp_store_methodE0EhEvPT3_S4_i
    .private_segment_fixed_size: 0
    .sgpr_count:     11
    .sgpr_spill_count: 0
    .symbol:         _Z25warp_store_guarded_kernelILj1024ELj4ELj1ELN7rocprim17ROCPRIM_304000_NS17warp_store_methodE0EhEvPT3_S4_i.kd
    .uniform_work_group_size: 1
    .uses_dynamic_stack: false
    .vgpr_count:     7
    .vgpr_spill_count: 0
    .wavefront_size: 64
  - .args:
      - .address_space:  global
        .offset:         0
        .size:           8
        .value_kind:     global_buffer
      - .address_space:  global
        .offset:         8
        .size:           8
        .value_kind:     global_buffer
      - .offset:         16
        .size:           4
        .value_kind:     by_value
    .group_segment_fixed_size: 4096
    .kernarg_segment_align: 8
    .kernarg_segment_size: 20
    .language:       OpenCL C
    .language_version:
      - 2
      - 0
    .max_flat_workgroup_size: 1024
    .name:           _Z25warp_store_guarded_kernelILj1024ELj4ELj1ELN7rocprim17ROCPRIM_304000_NS17warp_store_methodE3EaEvPT3_S4_i
    .private_segment_fixed_size: 0
    .sgpr_count:     16
    .sgpr_spill_count: 0
    .symbol:         _Z25warp_store_guarded_kernelILj1024ELj4ELj1ELN7rocprim17ROCPRIM_304000_NS17warp_store_methodE3EaEvPT3_S4_i.kd
    .uniform_work_group_size: 1
    .uses_dynamic_stack: false
    .vgpr_count:     4
    .vgpr_spill_count: 0
    .wavefront_size: 64
  - .args:
      - .address_space:  global
        .offset:         0
        .size:           8
        .value_kind:     global_buffer
      - .address_space:  global
        .offset:         8
        .size:           8
        .value_kind:     global_buffer
      - .offset:         16
        .size:           4
        .value_kind:     by_value
    .group_segment_fixed_size: 0
    .kernarg_segment_align: 8
    .kernarg_segment_size: 20
    .language:       OpenCL C
    .language_version:
      - 2
      - 0
    .max_flat_workgroup_size: 1024
    .name:           _Z25warp_store_guarded_kernelILj1024ELj4ELj1ELN7rocprim17ROCPRIM_304000_NS17warp_store_methodE2EaEvPT3_S4_i
    .private_segment_fixed_size: 0
    .sgpr_count:     11
    .sgpr_spill_count: 0
    .symbol:         _Z25warp_store_guarded_kernelILj1024ELj4ELj1ELN7rocprim17ROCPRIM_304000_NS17warp_store_methodE2EaEvPT3_S4_i.kd
    .uniform_work_group_size: 1
    .uses_dynamic_stack: false
    .vgpr_count:     7
    .vgpr_spill_count: 0
    .wavefront_size: 64
  - .args:
      - .address_space:  global
        .offset:         0
        .size:           8
        .value_kind:     global_buffer
      - .address_space:  global
        .offset:         8
        .size:           8
        .value_kind:     global_buffer
      - .offset:         16
        .size:           4
        .value_kind:     by_value
    .group_segment_fixed_size: 0
    .kernarg_segment_align: 8
    .kernarg_segment_size: 20
    .language:       OpenCL C
    .language_version:
      - 2
      - 0
    .max_flat_workgroup_size: 1024
    .name:           _Z25warp_store_guarded_kernelILj1024ELj4ELj1ELN7rocprim17ROCPRIM_304000_NS17warp_store_methodE1EaEvPT3_S4_i
    .private_segment_fixed_size: 0
    .sgpr_count:     11
    .sgpr_spill_count: 0
    .symbol:         _Z25warp_store_guarded_kernelILj1024ELj4ELj1ELN7rocprim17ROCPRIM_304000_NS17warp_store_methodE1EaEvPT3_S4_i.kd
    .uniform_work_group_size: 1
    .uses_dynamic_stack: false
    .vgpr_count:     7
    .vgpr_spill_count: 0
    .wavefront_size: 64
  - .args:
      - .address_space:  global
        .offset:         0
        .size:           8
        .value_kind:     global_buffer
      - .address_space:  global
        .offset:         8
        .size:           8
        .value_kind:     global_buffer
      - .offset:         16
        .size:           4
        .value_kind:     by_value
    .group_segment_fixed_size: 0
    .kernarg_segment_align: 8
    .kernarg_segment_size: 20
    .language:       OpenCL C
    .language_version:
      - 2
      - 0
    .max_flat_workgroup_size: 1024
    .name:           _Z25warp_store_guarded_kernelILj1024ELj4ELj1ELN7rocprim17ROCPRIM_304000_NS17warp_store_methodE0EaEvPT3_S4_i
    .private_segment_fixed_size: 0
    .sgpr_count:     11
    .sgpr_spill_count: 0
    .symbol:         _Z25warp_store_guarded_kernelILj1024ELj4ELj1ELN7rocprim17ROCPRIM_304000_NS17warp_store_methodE0EaEvPT3_S4_i.kd
    .uniform_work_group_size: 1
    .uses_dynamic_stack: false
    .vgpr_count:     7
    .vgpr_spill_count: 0
    .wavefront_size: 64
  - .args:
      - .address_space:  global
        .offset:         0
        .size:           8
        .value_kind:     global_buffer
      - .address_space:  global
        .offset:         8
        .size:           8
        .value_kind:     global_buffer
      - .offset:         16
        .size:           4
        .value_kind:     by_value
    .group_segment_fixed_size: 32768
    .kernarg_segment_align: 8
    .kernarg_segment_size: 20
    .language:       OpenCL C
    .language_version:
      - 2
      - 0
    .max_flat_workgroup_size: 1024
    .name:           _Z25warp_store_guarded_kernelILj1024ELj4ELj32ELN7rocprim17ROCPRIM_304000_NS17warp_store_methodE3E15HIP_vector_typeIfLj2EEEvPT3_S6_i
    .private_segment_fixed_size: 0
    .sgpr_count:     16
    .sgpr_spill_count: 0
    .symbol:         _Z25warp_store_guarded_kernelILj1024ELj4ELj32ELN7rocprim17ROCPRIM_304000_NS17warp_store_methodE3E15HIP_vector_typeIfLj2EEEvPT3_S6_i.kd
    .uniform_work_group_size: 1
    .uses_dynamic_stack: false
    .vgpr_count:     14
    .vgpr_spill_count: 0
    .wavefront_size: 64
  - .args:
      - .address_space:  global
        .offset:         0
        .size:           8
        .value_kind:     global_buffer
      - .address_space:  global
        .offset:         8
        .size:           8
        .value_kind:     global_buffer
      - .offset:         16
        .size:           4
        .value_kind:     by_value
    .group_segment_fixed_size: 0
    .kernarg_segment_align: 8
    .kernarg_segment_size: 20
    .language:       OpenCL C
    .language_version:
      - 2
      - 0
    .max_flat_workgroup_size: 1024
    .name:           _Z25warp_store_guarded_kernelILj1024ELj4ELj32ELN7rocprim17ROCPRIM_304000_NS17warp_store_methodE2E15HIP_vector_typeIfLj2EEEvPT3_S6_i
    .private_segment_fixed_size: 0
    .sgpr_count:     11
    .sgpr_spill_count: 0
    .symbol:         _Z25warp_store_guarded_kernelILj1024ELj4ELj32ELN7rocprim17ROCPRIM_304000_NS17warp_store_methodE2E15HIP_vector_typeIfLj2EEEvPT3_S6_i.kd
    .uniform_work_group_size: 1
    .uses_dynamic_stack: false
    .vgpr_count:     11
    .vgpr_spill_count: 0
    .wavefront_size: 64
  - .args:
      - .address_space:  global
        .offset:         0
        .size:           8
        .value_kind:     global_buffer
      - .address_space:  global
        .offset:         8
        .size:           8
        .value_kind:     global_buffer
      - .offset:         16
        .size:           4
        .value_kind:     by_value
    .group_segment_fixed_size: 0
    .kernarg_segment_align: 8
    .kernarg_segment_size: 20
    .language:       OpenCL C
    .language_version:
      - 2
      - 0
    .max_flat_workgroup_size: 1024
    .name:           _Z25warp_store_guarded_kernelILj1024ELj4ELj32ELN7rocprim17ROCPRIM_304000_NS17warp_store_methodE1E15HIP_vector_typeIfLj2EEEvPT3_S6_i
    .private_segment_fixed_size: 0
    .sgpr_count:     11
    .sgpr_spill_count: 0
    .symbol:         _Z25warp_store_guarded_kernelILj1024ELj4ELj32ELN7rocprim17ROCPRIM_304000_NS17warp_store_methodE1E15HIP_vector_typeIfLj2EEEvPT3_S6_i.kd
    .uniform_work_group_size: 1
    .uses_dynamic_stack: false
    .vgpr_count:     11
    .vgpr_spill_count: 0
    .wavefront_size: 64
  - .args:
      - .address_space:  global
        .offset:         0
        .size:           8
        .value_kind:     global_buffer
      - .address_space:  global
        .offset:         8
        .size:           8
        .value_kind:     global_buffer
      - .offset:         16
        .size:           4
        .value_kind:     by_value
    .group_segment_fixed_size: 0
    .kernarg_segment_align: 8
    .kernarg_segment_size: 20
    .language:       OpenCL C
    .language_version:
      - 2
      - 0
    .max_flat_workgroup_size: 1024
    .name:           _Z25warp_store_guarded_kernelILj1024ELj4ELj32ELN7rocprim17ROCPRIM_304000_NS17warp_store_methodE0E15HIP_vector_typeIfLj2EEEvPT3_S6_i
    .private_segment_fixed_size: 0
    .sgpr_count:     11
    .sgpr_spill_count: 0
    .symbol:         _Z25warp_store_guarded_kernelILj1024ELj4ELj32ELN7rocprim17ROCPRIM_304000_NS17warp_store_methodE0E15HIP_vector_typeIfLj2EEEvPT3_S6_i.kd
    .uniform_work_group_size: 1
    .uses_dynamic_stack: false
    .vgpr_count:     11
    .vgpr_spill_count: 0
    .wavefront_size: 64
  - .args:
      - .address_space:  global
        .offset:         0
        .size:           8
        .value_kind:     global_buffer
      - .address_space:  global
        .offset:         8
        .size:           8
        .value_kind:     global_buffer
      - .offset:         16
        .size:           4
        .value_kind:     by_value
    .group_segment_fixed_size: 16384
    .kernarg_segment_align: 8
    .kernarg_segment_size: 20
    .language:       OpenCL C
    .language_version:
      - 2
      - 0
    .max_flat_workgroup_size: 1024
    .name:           _Z25warp_store_guarded_kernelILj1024ELj4ELj64ELN7rocprim17ROCPRIM_304000_NS17warp_store_methodE3EiEvPT3_S4_i
    .private_segment_fixed_size: 0
    .sgpr_count:     16
    .sgpr_spill_count: 0
    .symbol:         _Z25warp_store_guarded_kernelILj1024ELj4ELj64ELN7rocprim17ROCPRIM_304000_NS17warp_store_methodE3EiEvPT3_S4_i.kd
    .uniform_work_group_size: 1
    .uses_dynamic_stack: false
    .vgpr_count:     12
    .vgpr_spill_count: 0
    .wavefront_size: 64
  - .args:
      - .address_space:  global
        .offset:         0
        .size:           8
        .value_kind:     global_buffer
      - .address_space:  global
        .offset:         8
        .size:           8
        .value_kind:     global_buffer
      - .offset:         16
        .size:           4
        .value_kind:     by_value
    .group_segment_fixed_size: 0
    .kernarg_segment_align: 8
    .kernarg_segment_size: 20
    .language:       OpenCL C
    .language_version:
      - 2
      - 0
    .max_flat_workgroup_size: 1024
    .name:           _Z25warp_store_guarded_kernelILj1024ELj4ELj64ELN7rocprim17ROCPRIM_304000_NS17warp_store_methodE2EiEvPT3_S4_i
    .private_segment_fixed_size: 0
    .sgpr_count:     11
    .sgpr_spill_count: 0
    .symbol:         _Z25warp_store_guarded_kernelILj1024ELj4ELj64ELN7rocprim17ROCPRIM_304000_NS17warp_store_methodE2EiEvPT3_S4_i.kd
    .uniform_work_group_size: 1
    .uses_dynamic_stack: false
    .vgpr_count:     8
    .vgpr_spill_count: 0
    .wavefront_size: 64
  - .args:
      - .address_space:  global
        .offset:         0
        .size:           8
        .value_kind:     global_buffer
      - .address_space:  global
        .offset:         8
        .size:           8
        .value_kind:     global_buffer
      - .offset:         16
        .size:           4
        .value_kind:     by_value
    .group_segment_fixed_size: 0
    .kernarg_segment_align: 8
    .kernarg_segment_size: 20
    .language:       OpenCL C
    .language_version:
      - 2
      - 0
    .max_flat_workgroup_size: 1024
    .name:           _Z25warp_store_guarded_kernelILj1024ELj4ELj64ELN7rocprim17ROCPRIM_304000_NS17warp_store_methodE1EiEvPT3_S4_i
    .private_segment_fixed_size: 0
    .sgpr_count:     11
    .sgpr_spill_count: 0
    .symbol:         _Z25warp_store_guarded_kernelILj1024ELj4ELj64ELN7rocprim17ROCPRIM_304000_NS17warp_store_methodE1EiEvPT3_S4_i.kd
    .uniform_work_group_size: 1
    .uses_dynamic_stack: false
    .vgpr_count:     9
    .vgpr_spill_count: 0
    .wavefront_size: 64
  - .args:
      - .address_space:  global
        .offset:         0
        .size:           8
        .value_kind:     global_buffer
      - .address_space:  global
        .offset:         8
        .size:           8
        .value_kind:     global_buffer
      - .offset:         16
        .size:           4
        .value_kind:     by_value
    .group_segment_fixed_size: 0
    .kernarg_segment_align: 8
    .kernarg_segment_size: 20
    .language:       OpenCL C
    .language_version:
      - 2
      - 0
    .max_flat_workgroup_size: 1024
    .name:           _Z25warp_store_guarded_kernelILj1024ELj4ELj64ELN7rocprim17ROCPRIM_304000_NS17warp_store_methodE0EiEvPT3_S4_i
    .private_segment_fixed_size: 0
    .sgpr_count:     11
    .sgpr_spill_count: 0
    .symbol:         _Z25warp_store_guarded_kernelILj1024ELj4ELj64ELN7rocprim17ROCPRIM_304000_NS17warp_store_methodE0EiEvPT3_S4_i.kd
    .uniform_work_group_size: 1
    .uses_dynamic_stack: false
    .vgpr_count:     8
    .vgpr_spill_count: 0
    .wavefront_size: 64
  - .args:
      - .address_space:  global
        .offset:         0
        .size:           8
        .value_kind:     global_buffer
      - .address_space:  global
        .offset:         8
        .size:           8
        .value_kind:     global_buffer
      - .offset:         16
        .size:           4
        .value_kind:     by_value
    .group_segment_fixed_size: 16384
    .kernarg_segment_align: 8
    .kernarg_segment_size: 20
    .language:       OpenCL C
    .language_version:
      - 2
      - 0
    .max_flat_workgroup_size: 1024
    .name:           _Z25warp_store_guarded_kernelILj1024ELj4ELj32ELN7rocprim17ROCPRIM_304000_NS17warp_store_methodE3EiEvPT3_S4_i
    .private_segment_fixed_size: 0
    .sgpr_count:     16
    .sgpr_spill_count: 0
    .symbol:         _Z25warp_store_guarded_kernelILj1024ELj4ELj32ELN7rocprim17ROCPRIM_304000_NS17warp_store_methodE3EiEvPT3_S4_i.kd
    .uniform_work_group_size: 1
    .uses_dynamic_stack: false
    .vgpr_count:     10
    .vgpr_spill_count: 0
    .wavefront_size: 64
  - .args:
      - .address_space:  global
        .offset:         0
        .size:           8
        .value_kind:     global_buffer
      - .address_space:  global
        .offset:         8
        .size:           8
        .value_kind:     global_buffer
      - .offset:         16
        .size:           4
        .value_kind:     by_value
    .group_segment_fixed_size: 0
    .kernarg_segment_align: 8
    .kernarg_segment_size: 20
    .language:       OpenCL C
    .language_version:
      - 2
      - 0
    .max_flat_workgroup_size: 1024
    .name:           _Z25warp_store_guarded_kernelILj1024ELj4ELj32ELN7rocprim17ROCPRIM_304000_NS17warp_store_methodE2EiEvPT3_S4_i
    .private_segment_fixed_size: 0
    .sgpr_count:     11
    .sgpr_spill_count: 0
    .symbol:         _Z25warp_store_guarded_kernelILj1024ELj4ELj32ELN7rocprim17ROCPRIM_304000_NS17warp_store_methodE2EiEvPT3_S4_i.kd
    .uniform_work_group_size: 1
    .uses_dynamic_stack: false
    .vgpr_count:     8
    .vgpr_spill_count: 0
    .wavefront_size: 64
  - .args:
      - .address_space:  global
        .offset:         0
        .size:           8
        .value_kind:     global_buffer
      - .address_space:  global
        .offset:         8
        .size:           8
        .value_kind:     global_buffer
      - .offset:         16
        .size:           4
        .value_kind:     by_value
    .group_segment_fixed_size: 0
    .kernarg_segment_align: 8
    .kernarg_segment_size: 20
    .language:       OpenCL C
    .language_version:
      - 2
      - 0
    .max_flat_workgroup_size: 1024
    .name:           _Z25warp_store_guarded_kernelILj1024ELj4ELj32ELN7rocprim17ROCPRIM_304000_NS17warp_store_methodE1EiEvPT3_S4_i
    .private_segment_fixed_size: 0
    .sgpr_count:     11
    .sgpr_spill_count: 0
    .symbol:         _Z25warp_store_guarded_kernelILj1024ELj4ELj32ELN7rocprim17ROCPRIM_304000_NS17warp_store_methodE1EiEvPT3_S4_i.kd
    .uniform_work_group_size: 1
    .uses_dynamic_stack: false
    .vgpr_count:     8
    .vgpr_spill_count: 0
    .wavefront_size: 64
  - .args:
      - .address_space:  global
        .offset:         0
        .size:           8
        .value_kind:     global_buffer
      - .address_space:  global
        .offset:         8
        .size:           8
        .value_kind:     global_buffer
      - .offset:         16
        .size:           4
        .value_kind:     by_value
    .group_segment_fixed_size: 0
    .kernarg_segment_align: 8
    .kernarg_segment_size: 20
    .language:       OpenCL C
    .language_version:
      - 2
      - 0
    .max_flat_workgroup_size: 1024
    .name:           _Z25warp_store_guarded_kernelILj1024ELj4ELj32ELN7rocprim17ROCPRIM_304000_NS17warp_store_methodE0EiEvPT3_S4_i
    .private_segment_fixed_size: 0
    .sgpr_count:     11
    .sgpr_spill_count: 0
    .symbol:         _Z25warp_store_guarded_kernelILj1024ELj4ELj32ELN7rocprim17ROCPRIM_304000_NS17warp_store_methodE0EiEvPT3_S4_i.kd
    .uniform_work_group_size: 1
    .uses_dynamic_stack: false
    .vgpr_count:     8
    .vgpr_spill_count: 0
    .wavefront_size: 64
  - .args:
      - .address_space:  global
        .offset:         0
        .size:           8
        .value_kind:     global_buffer
      - .address_space:  global
        .offset:         8
        .size:           8
        .value_kind:     global_buffer
      - .offset:         16
        .size:           4
        .value_kind:     by_value
    .group_segment_fixed_size: 16384
    .kernarg_segment_align: 8
    .kernarg_segment_size: 20
    .language:       OpenCL C
    .language_version:
      - 2
      - 0
    .max_flat_workgroup_size: 1024
    .name:           _Z25warp_store_guarded_kernelILj1024ELj4ELj8ELN7rocprim17ROCPRIM_304000_NS17warp_store_methodE3EiEvPT3_S4_i
    .private_segment_fixed_size: 0
    .sgpr_count:     16
    .sgpr_spill_count: 0
    .symbol:         _Z25warp_store_guarded_kernelILj1024ELj4ELj8ELN7rocprim17ROCPRIM_304000_NS17warp_store_methodE3EiEvPT3_S4_i.kd
    .uniform_work_group_size: 1
    .uses_dynamic_stack: false
    .vgpr_count:     10
    .vgpr_spill_count: 0
    .wavefront_size: 64
  - .args:
      - .address_space:  global
        .offset:         0
        .size:           8
        .value_kind:     global_buffer
      - .address_space:  global
        .offset:         8
        .size:           8
        .value_kind:     global_buffer
      - .offset:         16
        .size:           4
        .value_kind:     by_value
    .group_segment_fixed_size: 0
    .kernarg_segment_align: 8
    .kernarg_segment_size: 20
    .language:       OpenCL C
    .language_version:
      - 2
      - 0
    .max_flat_workgroup_size: 1024
    .name:           _Z25warp_store_guarded_kernelILj1024ELj4ELj8ELN7rocprim17ROCPRIM_304000_NS17warp_store_methodE2EiEvPT3_S4_i
    .private_segment_fixed_size: 0
    .sgpr_count:     11
    .sgpr_spill_count: 0
    .symbol:         _Z25warp_store_guarded_kernelILj1024ELj4ELj8ELN7rocprim17ROCPRIM_304000_NS17warp_store_methodE2EiEvPT3_S4_i.kd
    .uniform_work_group_size: 1
    .uses_dynamic_stack: false
    .vgpr_count:     8
    .vgpr_spill_count: 0
    .wavefront_size: 64
  - .args:
      - .address_space:  global
        .offset:         0
        .size:           8
        .value_kind:     global_buffer
      - .address_space:  global
        .offset:         8
        .size:           8
        .value_kind:     global_buffer
      - .offset:         16
        .size:           4
        .value_kind:     by_value
    .group_segment_fixed_size: 0
    .kernarg_segment_align: 8
    .kernarg_segment_size: 20
    .language:       OpenCL C
    .language_version:
      - 2
      - 0
    .max_flat_workgroup_size: 1024
    .name:           _Z25warp_store_guarded_kernelILj1024ELj4ELj8ELN7rocprim17ROCPRIM_304000_NS17warp_store_methodE1EiEvPT3_S4_i
    .private_segment_fixed_size: 0
    .sgpr_count:     11
    .sgpr_spill_count: 0
    .symbol:         _Z25warp_store_guarded_kernelILj1024ELj4ELj8ELN7rocprim17ROCPRIM_304000_NS17warp_store_methodE1EiEvPT3_S4_i.kd
    .uniform_work_group_size: 1
    .uses_dynamic_stack: false
    .vgpr_count:     8
    .vgpr_spill_count: 0
    .wavefront_size: 64
  - .args:
      - .address_space:  global
        .offset:         0
        .size:           8
        .value_kind:     global_buffer
      - .address_space:  global
        .offset:         8
        .size:           8
        .value_kind:     global_buffer
      - .offset:         16
        .size:           4
        .value_kind:     by_value
    .group_segment_fixed_size: 0
    .kernarg_segment_align: 8
    .kernarg_segment_size: 20
    .language:       OpenCL C
    .language_version:
      - 2
      - 0
    .max_flat_workgroup_size: 1024
    .name:           _Z25warp_store_guarded_kernelILj1024ELj4ELj8ELN7rocprim17ROCPRIM_304000_NS17warp_store_methodE0EiEvPT3_S4_i
    .private_segment_fixed_size: 0
    .sgpr_count:     11
    .sgpr_spill_count: 0
    .symbol:         _Z25warp_store_guarded_kernelILj1024ELj4ELj8ELN7rocprim17ROCPRIM_304000_NS17warp_store_methodE0EiEvPT3_S4_i.kd
    .uniform_work_group_size: 1
    .uses_dynamic_stack: false
    .vgpr_count:     8
    .vgpr_spill_count: 0
    .wavefront_size: 64
amdhsa.target:   amdgcn-amd-amdhsa--gfx906
amdhsa.version:
  - 1
  - 2
...

	.end_amdgpu_metadata
